;; amdgpu-corpus repo=ROCm/rocFFT kind=compiled arch=gfx906 opt=O3
	.text
	.amdgcn_target "amdgcn-amd-amdhsa--gfx906"
	.amdhsa_code_object_version 6
	.protected	bluestein_single_back_len2025_dim1_dp_op_CI_CI ; -- Begin function bluestein_single_back_len2025_dim1_dp_op_CI_CI
	.globl	bluestein_single_back_len2025_dim1_dp_op_CI_CI
	.p2align	8
	.type	bluestein_single_back_len2025_dim1_dp_op_CI_CI,@function
bluestein_single_back_len2025_dim1_dp_op_CI_CI: ; @bluestein_single_back_len2025_dim1_dp_op_CI_CI
; %bb.0:
	s_load_dwordx4 s[12:15], s[4:5], 0x28
	s_mov_b64 s[26:27], s[2:3]
	v_mul_u32_u24_e32 v3, 0x1e6, v0
	s_mov_b64 s[24:25], s[0:1]
	v_add_u32_sdwa v1, s6, v3 dst_sel:DWORD dst_unused:UNUSED_PAD src0_sel:DWORD src1_sel:WORD_1
	v_mov_b32_e32 v2, 0
	s_add_u32 s24, s24, s7
	s_waitcnt lgkmcnt(0)
	v_cmp_gt_u64_e32 vcc, s[12:13], v[1:2]
	s_addc_u32 s25, s25, 0
	s_and_saveexec_b64 s[0:1], vcc
	s_cbranch_execz .LBB0_2
; %bb.1:
	s_load_dwordx4 s[8:11], s[4:5], 0x0
	s_load_dwordx4 s[16:19], s[4:5], 0x18
	s_load_dwordx2 s[12:13], s[4:5], 0x38
	s_movk_i32 s20, 0x2000
	s_movk_i32 s21, 0x1000
                                        ; kill: killed $sgpr8_sgpr9
	s_movk_i32 s22, 0x6d
	s_waitcnt lgkmcnt(0)
	s_load_dwordx4 s[0:3], s[18:19], 0x0
	s_mov_b32 s19, 0xbfee6f0e
	s_waitcnt lgkmcnt(0)
	v_mad_u64_u32 v[6:7], s[4:5], s2, v1, 0
	v_mov_b32_e32 v2, v7
	v_mad_u64_u32 v[4:5], s[2:3], s3, v1, v[2:3]
	v_mov_b32_e32 v7, v4
	buffer_store_dword v6, off, s[24:27], 0 offset:48 ; 4-byte Folded Spill
	s_nop 0
	buffer_store_dword v7, off, s[24:27], 0 offset:52 ; 4-byte Folded Spill
	s_load_dwordx4 s[4:7], s[16:17], 0x0
	s_mov_b32 s16, 0x4755a5e
	s_mov_b32 s17, 0x3fe2cf23
	s_waitcnt lgkmcnt(0)
	v_mad_u64_u32 v[4:5], s[2:3], s6, v1, 0
	s_movk_i32 s6, 0x87
	v_mov_b32_e32 v2, v5
	v_mad_u64_u32 v[1:2], s[2:3], s7, v1, v[2:3]
	s_movk_i32 s7, 0x5000
	v_mov_b32_e32 v5, v1
	v_mul_lo_u16_sdwa v1, v3, s6 dst_sel:DWORD dst_unused:UNUSED_PAD src0_sel:WORD_1 src1_sel:DWORD
	v_sub_u16_e32 v37, v0, v1
	v_lshlrev_b32_e32 v38, 4, v37
	global_load_dwordx4 v[10:13], v38, s[8:9]
	v_mad_u64_u32 v[0:1], s[2:3], s4, v37, 0
	v_mad_u64_u32 v[1:2], s[2:3], s5, v37, v[1:2]
	v_lshlrev_b64 v[2:3], 4, v[4:5]
	v_mov_b32_e32 v4, s15
	v_add_co_u32_e32 v2, vcc, s14, v2
	v_lshlrev_b64 v[0:1], 4, v[0:1]
	v_addc_co_u32_e32 v3, vcc, v4, v3, vcc
	v_add_co_u32_e32 v8, vcc, v2, v0
	v_addc_co_u32_e32 v9, vcc, v3, v1, vcc
	global_load_dwordx4 v[0:3], v[8:9], off
	v_add_co_u32_e32 v107, vcc, s8, v38
	v_mov_b32_e32 v4, s9
	v_addc_co_u32_e32 v96, vcc, 0, v4, vcc
	s_mul_i32 s2, s5, 0x2a30
	s_mul_hi_u32 s3, s4, 0x2a30
	s_add_i32 s2, s3, s2
	s_mul_i32 s3, s4, 0x2a30
	s_mulk_i32 s5, 0xb410
	s_mov_b32 s15, 0xbfe2cf23
	s_mov_b32 s14, s16
	s_waitcnt vmcnt(1)
	buffer_store_dword v10, off, s[24:27], 0 offset:88 ; 4-byte Folded Spill
	s_nop 0
	buffer_store_dword v11, off, s[24:27], 0 offset:92 ; 4-byte Folded Spill
	buffer_store_dword v12, off, s[24:27], 0 offset:96 ; 4-byte Folded Spill
	;; [unrolled: 1-line block ×3, first 2 shown]
	s_waitcnt vmcnt(4)
	v_mul_f64 v[4:5], v[2:3], v[12:13]
	v_fma_f64 v[4:5], v[0:1], v[10:11], v[4:5]
	v_mul_f64 v[0:1], v[0:1], v[12:13]
	v_fma_f64 v[6:7], v[2:3], v[10:11], -v[0:1]
	v_add_co_u32_e32 v10, vcc, s3, v8
	v_mov_b32_e32 v0, s2
	v_addc_co_u32_e32 v11, vcc, v9, v0, vcc
	v_add_co_u32_e32 v0, vcc, s20, v107
	v_addc_co_u32_e32 v1, vcc, 0, v96, vcc
	global_load_dwordx4 v[12:15], v[0:1], off offset:2608
	ds_write_b128 v38, v[4:7]
	global_load_dwordx4 v[2:5], v[10:11], off
	v_add_co_u32_e32 v10, vcc, s3, v10
                                        ; kill: killed $vgpr0 killed $vgpr1
	s_waitcnt vmcnt(1)
	buffer_store_dword v12, off, s[24:27], 0 offset:120 ; 4-byte Folded Spill
	s_nop 0
	buffer_store_dword v13, off, s[24:27], 0 offset:124 ; 4-byte Folded Spill
	buffer_store_dword v14, off, s[24:27], 0 offset:128 ; 4-byte Folded Spill
	;; [unrolled: 1-line block ×3, first 2 shown]
	s_waitcnt vmcnt(4)
	v_mul_f64 v[6:7], v[4:5], v[14:15]
	v_fma_f64 v[6:7], v[2:3], v[12:13], v[6:7]
	v_mul_f64 v[2:3], v[2:3], v[14:15]
	v_fma_f64 v[8:9], v[4:5], v[12:13], -v[2:3]
	v_mov_b32_e32 v2, s2
	v_addc_co_u32_e32 v11, vcc, v11, v2, vcc
	v_add_co_u32_e32 v12, vcc, s7, v107
	v_addc_co_u32_e32 v13, vcc, 0, v96, vcc
	global_load_dwordx4 v[14:17], v[12:13], off offset:1120
	global_load_dwordx4 v[2:5], v[10:11], off
	ds_write_b128 v38, v[6:9] offset:10800
	v_add_co_u32_e32 v36, vcc, s6, v37
	v_addc_co_u32_e64 v52, s[6:7], 0, 0, vcc
	s_mul_hi_u32 s6, s4, 0xffffb410
	s_sub_i32 s6, s6, s4
	s_add_i32 s5, s6, s5
	s_mulk_i32 s4, 0xb410
	v_add_co_u32_e32 v10, vcc, s4, v10
	s_movk_i32 s6, 0x3000
                                        ; kill: killed $vgpr12 killed $vgpr13
	s_waitcnt vmcnt(1)
	buffer_store_dword v14, off, s[24:27], 0 offset:168 ; 4-byte Folded Spill
	s_nop 0
	buffer_store_dword v15, off, s[24:27], 0 offset:172 ; 4-byte Folded Spill
	buffer_store_dword v16, off, s[24:27], 0 offset:176 ; 4-byte Folded Spill
	;; [unrolled: 1-line block ×3, first 2 shown]
	s_waitcnt vmcnt(4)
	v_mul_f64 v[6:7], v[4:5], v[16:17]
	v_fma_f64 v[6:7], v[2:3], v[14:15], v[6:7]
	v_mul_f64 v[2:3], v[2:3], v[16:17]
	v_fma_f64 v[8:9], v[4:5], v[14:15], -v[2:3]
	v_mov_b32_e32 v2, s5
	v_addc_co_u32_e32 v11, vcc, v11, v2, vcc
	ds_write_b128 v38, v[6:9] offset:21600
	global_load_dwordx4 v[2:5], v[10:11], off
	global_load_dwordx4 v[14:17], v38, s[8:9] offset:2160
	v_add_co_u32_e32 v10, vcc, s3, v10
	s_mov_b32 s8, 0x134454ff
	s_mov_b32 s9, 0x3fee6f0e
	;; [unrolled: 1-line block ×3, first 2 shown]
	s_waitcnt vmcnt(0)
	buffer_store_dword v14, off, s[24:27], 0 offset:56 ; 4-byte Folded Spill
	s_nop 0
	buffer_store_dword v15, off, s[24:27], 0 offset:60 ; 4-byte Folded Spill
	buffer_store_dword v16, off, s[24:27], 0 offset:64 ; 4-byte Folded Spill
	;; [unrolled: 1-line block ×3, first 2 shown]
	v_mul_f64 v[6:7], v[4:5], v[16:17]
	v_fma_f64 v[6:7], v[2:3], v[14:15], v[6:7]
	v_mul_f64 v[2:3], v[2:3], v[16:17]
	v_fma_f64 v[8:9], v[4:5], v[14:15], -v[2:3]
	v_mov_b32_e32 v2, s2
	v_addc_co_u32_e32 v11, vcc, v11, v2, vcc
	v_add_co_u32_e32 v14, vcc, s6, v107
	v_addc_co_u32_e32 v15, vcc, 0, v96, vcc
	global_load_dwordx4 v[16:19], v[14:15], off offset:672
	global_load_dwordx4 v[2:5], v[10:11], off
	ds_write_b128 v38, v[6:9] offset:2160
	v_add_co_u32_e32 v10, vcc, s3, v10
	s_movk_i32 s6, 0x10e
                                        ; kill: killed $vgpr14 killed $vgpr15
	s_waitcnt vmcnt(1)
	buffer_store_dword v16, off, s[24:27], 0 offset:72 ; 4-byte Folded Spill
	s_nop 0
	buffer_store_dword v17, off, s[24:27], 0 offset:76 ; 4-byte Folded Spill
	buffer_store_dword v18, off, s[24:27], 0 offset:80 ; 4-byte Folded Spill
	;; [unrolled: 1-line block ×3, first 2 shown]
	s_waitcnt vmcnt(4)
	v_mul_f64 v[6:7], v[4:5], v[18:19]
	v_fma_f64 v[6:7], v[2:3], v[16:17], v[6:7]
	v_mul_f64 v[2:3], v[2:3], v[18:19]
	v_fma_f64 v[8:9], v[4:5], v[16:17], -v[2:3]
	v_mov_b32_e32 v2, s2
	v_addc_co_u32_e32 v11, vcc, v11, v2, vcc
	v_add_co_u32_e32 v236, vcc, s6, v37
	s_movk_i32 s6, 0x6000
	ds_write_b128 v38, v[6:9] offset:12960
	global_load_dwordx4 v[2:5], v[10:11], off
	global_load_dwordx4 v[16:19], v[12:13], off offset:3280
	v_add_co_u32_e32 v10, vcc, s4, v10
	s_waitcnt vmcnt(0)
	buffer_store_dword v16, off, s[24:27], 0 offset:104 ; 4-byte Folded Spill
	s_nop 0
	buffer_store_dword v17, off, s[24:27], 0 offset:108 ; 4-byte Folded Spill
	buffer_store_dword v18, off, s[24:27], 0 offset:112 ; 4-byte Folded Spill
	;; [unrolled: 1-line block ×3, first 2 shown]
	v_mul_f64 v[6:7], v[4:5], v[18:19]
	v_fma_f64 v[6:7], v[2:3], v[16:17], v[6:7]
	v_mul_f64 v[2:3], v[2:3], v[18:19]
	v_fma_f64 v[8:9], v[4:5], v[16:17], -v[2:3]
	v_mov_b32_e32 v2, s5
	v_addc_co_u32_e32 v11, vcc, v11, v2, vcc
	v_add_co_u32_e32 v12, vcc, s21, v107
	v_addc_co_u32_e32 v13, vcc, 0, v96, vcc
	global_load_dwordx4 v[16:19], v[12:13], off offset:224
	global_load_dwordx4 v[2:5], v[10:11], off
	ds_write_b128 v38, v[6:9] offset:23760
	v_add_co_u32_e32 v10, vcc, s3, v10
                                        ; kill: killed $vgpr12 killed $vgpr13
	s_waitcnt vmcnt(1)
	buffer_store_dword v16, off, s[24:27], 0 offset:136 ; 4-byte Folded Spill
	s_nop 0
	buffer_store_dword v17, off, s[24:27], 0 offset:140 ; 4-byte Folded Spill
	buffer_store_dword v18, off, s[24:27], 0 offset:144 ; 4-byte Folded Spill
	;; [unrolled: 1-line block ×3, first 2 shown]
	s_waitcnt vmcnt(4)
	v_mul_f64 v[6:7], v[4:5], v[18:19]
	v_fma_f64 v[6:7], v[2:3], v[16:17], v[6:7]
	v_mul_f64 v[2:3], v[2:3], v[18:19]
	v_fma_f64 v[8:9], v[4:5], v[16:17], -v[2:3]
	v_mov_b32_e32 v2, s2
	v_addc_co_u32_e32 v11, vcc, v11, v2, vcc
	ds_write_b128 v38, v[6:9] offset:4320
	global_load_dwordx4 v[2:5], v[10:11], off
	global_load_dwordx4 v[16:19], v[14:15], off offset:2832
	v_add_co_u32_e32 v10, vcc, s3, v10
	s_waitcnt vmcnt(0)
	buffer_store_dword v16, off, s[24:27], 0 offset:152 ; 4-byte Folded Spill
	s_nop 0
	buffer_store_dword v17, off, s[24:27], 0 offset:156 ; 4-byte Folded Spill
	buffer_store_dword v18, off, s[24:27], 0 offset:160 ; 4-byte Folded Spill
	;; [unrolled: 1-line block ×3, first 2 shown]
	v_mul_f64 v[6:7], v[4:5], v[18:19]
	v_fma_f64 v[6:7], v[2:3], v[16:17], v[6:7]
	v_mul_f64 v[2:3], v[2:3], v[18:19]
	v_fma_f64 v[8:9], v[4:5], v[16:17], -v[2:3]
	v_mov_b32_e32 v2, s2
	v_addc_co_u32_e32 v11, vcc, v11, v2, vcc
	v_add_co_u32_e32 v14, vcc, s6, v107
	v_addc_co_u32_e32 v15, vcc, 0, v96, vcc
	global_load_dwordx4 v[16:19], v[14:15], off offset:1344
	global_load_dwordx4 v[2:5], v[10:11], off
	ds_write_b128 v38, v[6:9] offset:15120
	s_movk_i32 s6, 0x195
	v_add_co_u32_e32 v105, vcc, s6, v37
	v_add_co_u32_e32 v10, vcc, s4, v10
	s_movk_i32 s6, 0x4000
                                        ; kill: killed $vgpr14 killed $vgpr15
	s_waitcnt vmcnt(1)
	buffer_store_dword v16, off, s[24:27], 0 offset:184 ; 4-byte Folded Spill
	s_nop 0
	buffer_store_dword v17, off, s[24:27], 0 offset:188 ; 4-byte Folded Spill
	buffer_store_dword v18, off, s[24:27], 0 offset:192 ; 4-byte Folded Spill
	;; [unrolled: 1-line block ×3, first 2 shown]
	s_waitcnt vmcnt(4)
	v_mul_f64 v[6:7], v[4:5], v[18:19]
	v_fma_f64 v[6:7], v[2:3], v[16:17], v[6:7]
	v_mul_f64 v[2:3], v[2:3], v[18:19]
	v_fma_f64 v[8:9], v[4:5], v[16:17], -v[2:3]
	v_mov_b32_e32 v2, s5
	v_addc_co_u32_e32 v11, vcc, v11, v2, vcc
	ds_write_b128 v38, v[6:9] offset:25920
	global_load_dwordx4 v[2:5], v[10:11], off
	global_load_dwordx4 v[16:19], v[12:13], off offset:2384
	v_add_co_u32_e32 v10, vcc, s3, v10
	s_waitcnt vmcnt(0)
	buffer_store_dword v16, off, s[24:27], 0 offset:200 ; 4-byte Folded Spill
	s_nop 0
	buffer_store_dword v17, off, s[24:27], 0 offset:204 ; 4-byte Folded Spill
	buffer_store_dword v18, off, s[24:27], 0 offset:208 ; 4-byte Folded Spill
	;; [unrolled: 1-line block ×3, first 2 shown]
	v_mul_f64 v[6:7], v[4:5], v[18:19]
	v_fma_f64 v[6:7], v[2:3], v[16:17], v[6:7]
	v_mul_f64 v[2:3], v[2:3], v[18:19]
	v_fma_f64 v[8:9], v[4:5], v[16:17], -v[2:3]
	v_mov_b32_e32 v2, s2
	v_addc_co_u32_e32 v11, vcc, v11, v2, vcc
	v_add_co_u32_e32 v12, vcc, s6, v107
	v_addc_co_u32_e32 v13, vcc, 0, v96, vcc
	global_load_dwordx4 v[16:19], v[12:13], off offset:896
	global_load_dwordx4 v[2:5], v[10:11], off
	ds_write_b128 v38, v[6:9] offset:6480
	v_add_co_u32_e32 v10, vcc, s3, v10
	s_movk_i32 s6, 0x21c
                                        ; kill: killed $vgpr12 killed $vgpr13
	s_waitcnt vmcnt(1)
	buffer_store_dword v16, off, s[24:27], 0 offset:216 ; 4-byte Folded Spill
	s_nop 0
	buffer_store_dword v17, off, s[24:27], 0 offset:220 ; 4-byte Folded Spill
	buffer_store_dword v18, off, s[24:27], 0 offset:224 ; 4-byte Folded Spill
	buffer_store_dword v19, off, s[24:27], 0 offset:228 ; 4-byte Folded Spill
	s_waitcnt vmcnt(4)
	v_mul_f64 v[6:7], v[4:5], v[18:19]
	v_fma_f64 v[6:7], v[2:3], v[16:17], v[6:7]
	v_mul_f64 v[2:3], v[2:3], v[18:19]
	v_fma_f64 v[8:9], v[4:5], v[16:17], -v[2:3]
	v_mov_b32_e32 v2, s2
	v_addc_co_u32_e32 v11, vcc, v11, v2, vcc
	v_add_co_u32_e32 v106, vcc, s6, v37
	s_movk_i32 s6, 0xab
	ds_write_b128 v38, v[6:9] offset:17280
	global_load_dwordx4 v[2:5], v[10:11], off
	global_load_dwordx4 v[16:19], v[14:15], off offset:3504
	s_waitcnt vmcnt(0)
	buffer_store_dword v16, off, s[24:27], 0 offset:232 ; 4-byte Folded Spill
	s_nop 0
	buffer_store_dword v17, off, s[24:27], 0 offset:236 ; 4-byte Folded Spill
	buffer_store_dword v18, off, s[24:27], 0 offset:240 ; 4-byte Folded Spill
	buffer_store_dword v19, off, s[24:27], 0 offset:244 ; 4-byte Folded Spill
	v_mul_f64 v[6:7], v[4:5], v[18:19]
	v_fma_f64 v[6:7], v[2:3], v[16:17], v[6:7]
	v_mul_f64 v[2:3], v[2:3], v[18:19]
	v_fma_f64 v[8:9], v[4:5], v[16:17], -v[2:3]
	v_mov_b32_e32 v2, s5
	ds_write_b128 v38, v[6:9] offset:28080
	v_add_co_u32_e32 v6, vcc, s4, v10
	v_addc_co_u32_e32 v7, vcc, v11, v2, vcc
	global_load_dwordx4 v[2:5], v[6:7], off
	global_load_dwordx4 v[8:11], v[0:1], off offset:448
	s_mov_b32 s4, 0xe8584caa
	s_mov_b32 s5, 0x3febb67a
	s_waitcnt vmcnt(0)
	buffer_store_dword v8, off, s[24:27], 0 offset:32 ; 4-byte Folded Spill
	s_nop 0
	buffer_store_dword v9, off, s[24:27], 0 offset:36 ; 4-byte Folded Spill
	buffer_store_dword v10, off, s[24:27], 0 offset:40 ; 4-byte Folded Spill
	;; [unrolled: 1-line block ×3, first 2 shown]
	v_mul_f64 v[0:1], v[4:5], v[10:11]
	v_fma_f64 v[0:1], v[2:3], v[8:9], v[0:1]
	v_mul_f64 v[2:3], v[2:3], v[10:11]
	v_fma_f64 v[2:3], v[4:5], v[8:9], -v[2:3]
	v_add_co_u32_e32 v8, vcc, s3, v6
	ds_write_b128 v38, v[0:3] offset:8640
	v_mov_b32_e32 v0, s2
	v_addc_co_u32_e32 v9, vcc, v7, v0, vcc
	global_load_dwordx4 v[0:3], v[8:9], off
	global_load_dwordx4 v[14:17], v[12:13], off offset:3056
	s_waitcnt vmcnt(0)
	buffer_store_dword v14, off, s[24:27], 0 ; 4-byte Folded Spill
	s_nop 0
	buffer_store_dword v15, off, s[24:27], 0 offset:4 ; 4-byte Folded Spill
	buffer_store_dword v16, off, s[24:27], 0 offset:8 ; 4-byte Folded Spill
	;; [unrolled: 1-line block ×3, first 2 shown]
	v_mul_f64 v[4:5], v[2:3], v[16:17]
	v_fma_f64 v[4:5], v[0:1], v[14:15], v[4:5]
	v_mul_f64 v[0:1], v[0:1], v[16:17]
	v_fma_f64 v[6:7], v[2:3], v[14:15], -v[0:1]
	v_add_co_u32_e32 v0, vcc, s3, v8
	v_mov_b32_e32 v1, s2
	v_addc_co_u32_e32 v1, vcc, v9, v1, vcc
	s_movk_i32 s2, 0x7000
	global_load_dwordx4 v[0:3], v[0:1], off
	ds_write_b128 v38, v[4:7] offset:19440
	v_add_co_u32_e32 v4, vcc, s2, v107
	v_addc_co_u32_e32 v5, vcc, 0, v96, vcc
	buffer_store_dword v4, off, s[24:27], 0 offset:532 ; 4-byte Folded Spill
	s_nop 0
	buffer_store_dword v5, off, s[24:27], 0 offset:536 ; 4-byte Folded Spill
	s_mov_b32 s3, 0xbfebb67a
	s_mov_b32 s2, s4
	global_load_dwordx4 v[4:7], v[4:5], off offset:1568
	s_waitcnt vmcnt(0)
	v_mov_b32_e32 v9, v7
	v_mov_b32_e32 v8, v6
	;; [unrolled: 1-line block ×4, first 2 shown]
	v_mul_f64 v[4:5], v[2:3], v[8:9]
	v_fma_f64 v[4:5], v[0:1], v[6:7], v[4:5]
	v_mul_f64 v[0:1], v[0:1], v[8:9]
	buffer_store_dword v6, off, s[24:27], 0 offset:16 ; 4-byte Folded Spill
	s_nop 0
	buffer_store_dword v7, off, s[24:27], 0 offset:20 ; 4-byte Folded Spill
	buffer_store_dword v8, off, s[24:27], 0 offset:24 ; 4-byte Folded Spill
	;; [unrolled: 1-line block ×3, first 2 shown]
	v_fma_f64 v[6:7], v[2:3], v[6:7], -v[0:1]
	ds_write_b128 v38, v[4:7] offset:30240
	s_waitcnt vmcnt(0) lgkmcnt(0)
	s_barrier
	ds_read_b128 v[16:19], v38
	ds_read_b128 v[20:23], v38 offset:10800
	ds_read_b128 v[24:27], v38 offset:21600
	;; [unrolled: 1-line block ×14, first 2 shown]
	s_waitcnt lgkmcnt(12)
	v_add_f64 v[2:3], v[20:21], v[24:25]
	v_add_f64 v[44:45], v[22:23], -v[26:27]
	v_add_f64 v[0:1], v[16:17], v[20:21]
	v_add_f64 v[20:21], v[20:21], -v[24:25]
	s_waitcnt lgkmcnt(6)
	v_add_f64 v[46:47], v[64:65], -v[68:69]
	s_waitcnt lgkmcnt(0)
	s_barrier
	v_fma_f64 v[2:3], v[2:3], -0.5, v[16:17]
	v_add_f64 v[0:1], v[0:1], v[24:25]
	v_fma_f64 v[16:17], v[44:45], s[4:5], v[2:3]
	v_fma_f64 v[84:85], v[44:45], s[2:3], v[2:3]
	v_add_f64 v[2:3], v[18:19], v[22:23]
	v_add_f64 v[22:23], v[22:23], v[26:27]
	;; [unrolled: 1-line block ×3, first 2 shown]
	v_fma_f64 v[22:23], v[22:23], -0.5, v[18:19]
	v_add_f64 v[26:27], v[34:35], -v[42:43]
	v_fma_f64 v[18:19], v[20:21], s[2:3], v[22:23]
	v_fma_f64 v[86:87], v[20:21], s[4:5], v[22:23]
	v_add_f64 v[22:23], v[32:33], v[40:41]
	v_add_f64 v[20:21], v[28:29], v[32:33]
	v_add_f64 v[32:33], v[32:33], -v[40:41]
	v_fma_f64 v[22:23], v[22:23], -0.5, v[28:29]
	v_add_f64 v[20:21], v[20:21], v[40:41]
	v_fma_f64 v[24:25], v[26:27], s[4:5], v[22:23]
	v_fma_f64 v[28:29], v[26:27], s[2:3], v[22:23]
	v_add_f64 v[22:23], v[30:31], v[34:35]
	v_add_f64 v[26:27], v[34:35], v[42:43]
	;; [unrolled: 1-line block ×4, first 2 shown]
	v_fma_f64 v[30:31], v[26:27], -0.5, v[30:31]
	v_fma_f64 v[34:35], v[34:35], -0.5, v[60:61]
	v_add_f64 v[42:43], v[66:67], -v[70:71]
	v_fma_f64 v[26:27], v[32:33], s[2:3], v[30:31]
	v_fma_f64 v[30:31], v[32:33], s[4:5], v[30:31]
	v_add_f64 v[32:33], v[60:61], v[64:65]
	v_fma_f64 v[40:41], v[42:43], s[4:5], v[34:35]
	v_fma_f64 v[60:61], v[42:43], s[2:3], v[34:35]
	v_add_f64 v[42:43], v[66:67], v[70:71]
	v_add_f64 v[34:35], v[62:63], v[66:67]
	;; [unrolled: 1-line block ×3, first 2 shown]
	v_fma_f64 v[44:45], v[42:43], -0.5, v[62:63]
	v_add_f64 v[34:35], v[34:35], v[70:71]
	v_fma_f64 v[42:43], v[46:47], s[2:3], v[44:45]
	v_fma_f64 v[62:63], v[46:47], s[4:5], v[44:45]
	v_add_f64 v[44:45], v[72:73], v[76:77]
	v_add_f64 v[46:47], v[78:79], -v[82:83]
	v_add_f64 v[64:65], v[44:45], v[80:81]
	v_add_f64 v[44:45], v[76:77], v[80:81]
	v_fma_f64 v[44:45], v[44:45], -0.5, v[72:73]
	v_fma_f64 v[68:69], v[46:47], s[4:5], v[44:45]
	v_fma_f64 v[72:73], v[46:47], s[2:3], v[44:45]
	v_add_f64 v[44:45], v[74:75], v[78:79]
	v_add_f64 v[46:47], v[76:77], -v[80:81]
	v_add_f64 v[66:67], v[44:45], v[82:83]
	v_add_f64 v[44:45], v[78:79], v[82:83]
	v_fma_f64 v[44:45], v[44:45], -0.5, v[74:75]
	v_fma_f64 v[70:71], v[46:47], s[2:3], v[44:45]
	v_fma_f64 v[74:75], v[46:47], s[4:5], v[44:45]
	v_add_f64 v[44:45], v[12:13], v[4:5]
	v_add_f64 v[46:47], v[6:7], -v[10:11]
	v_add_f64 v[76:77], v[44:45], v[8:9]
	v_add_f64 v[44:45], v[4:5], v[8:9]
	v_add_f64 v[4:5], v[4:5], -v[8:9]
	v_fma_f64 v[44:45], v[44:45], -0.5, v[12:13]
	v_fma_f64 v[12:13], v[46:47], s[4:5], v[44:45]
	v_fma_f64 v[80:81], v[46:47], s[2:3], v[44:45]
	v_add_f64 v[44:45], v[14:15], v[6:7]
	v_add_f64 v[6:7], v[6:7], v[10:11]
	;; [unrolled: 1-line block ×3, first 2 shown]
	v_fma_f64 v[6:7], v[6:7], -0.5, v[14:15]
	v_fma_f64 v[14:15], v[4:5], s[2:3], v[6:7]
	v_fma_f64 v[82:83], v[4:5], s[4:5], v[6:7]
	v_mul_lo_u16_e32 v4, 3, v37
	v_lshlrev_b32_e32 v4, 4, v4
	ds_write_b128 v4, v[0:3]
	ds_write_b128 v4, v[16:19] offset:16
	v_mul_u32_u24_e32 v0, 3, v36
	v_lshlrev_b32_e32 v0, 4, v0
	buffer_store_dword v4, off, s[24:27], 0 offset:300 ; 4-byte Folded Spill
	ds_write_b128 v4, v[84:87] offset:32
	buffer_store_dword v0, off, s[24:27], 0 offset:296 ; 4-byte Folded Spill
	ds_write_b128 v0, v[20:23]
	ds_write_b128 v0, v[24:27] offset:16
	ds_write_b128 v0, v[28:31] offset:32
	v_mul_u32_u24_e32 v0, 3, v236
	v_mul_lo_u16_sdwa v20, v37, s6 dst_sel:DWORD dst_unused:UNUSED_PAD src0_sel:BYTE_0 src1_sel:DWORD
	v_lshlrev_b32_e32 v0, 4, v0
	v_lshrrev_b16_e32 v20, 9, v20
	buffer_store_dword v0, off, s[24:27], 0 offset:292 ; 4-byte Folded Spill
	ds_write_b128 v0, v[32:35]
	ds_write_b128 v0, v[40:43] offset:16
	ds_write_b128 v0, v[60:63] offset:32
	v_mul_u32_u24_e32 v0, 3, v105
	v_mul_lo_u16_e32 v21, 3, v20
	v_lshlrev_b32_e32 v0, 4, v0
	v_sub_u16_e32 v21, v37, v21
	buffer_store_dword v0, off, s[24:27], 0 offset:288 ; 4-byte Folded Spill
	ds_write_b128 v0, v[64:67]
	ds_write_b128 v0, v[68:71] offset:16
	ds_write_b128 v0, v[72:75] offset:32
	v_mul_u32_u24_e32 v0, 3, v106
	v_and_b32_e32 v21, 0xff, v21
	v_lshlrev_b32_e32 v0, 4, v0
	v_lshlrev_b32_e32 v34, 5, v21
	buffer_store_dword v0, off, s[24:27], 0 offset:252 ; 4-byte Folded Spill
	ds_write_b128 v0, v[76:79]
	ds_write_b128 v0, v[12:15] offset:16
	ds_write_b128 v0, v[80:83] offset:32
	s_waitcnt vmcnt(0) lgkmcnt(0)
	s_barrier
	ds_read_b128 v[16:19], v38
	ds_read_b128 v[22:25], v38 offset:10800
	ds_read_b128 v[26:29], v38 offset:21600
	;; [unrolled: 1-line block ×14, first 2 shown]
	global_load_dwordx4 v[46:49], v34, s[10:11] offset:16
	global_load_dwordx4 v[53:56], v34, s[10:11]
	s_waitcnt vmcnt(0)
	buffer_store_dword v53, off, s[24:27], 0 offset:272 ; 4-byte Folded Spill
	s_nop 0
	buffer_store_dword v54, off, s[24:27], 0 offset:276 ; 4-byte Folded Spill
	buffer_store_dword v55, off, s[24:27], 0 offset:280 ; 4-byte Folded Spill
	;; [unrolled: 1-line block ×3, first 2 shown]
	v_mov_b32_e32 v51, v49
	v_mov_b32_e32 v50, v48
	;; [unrolled: 1-line block ×4, first 2 shown]
	buffer_store_dword v48, off, s[24:27], 0 offset:256 ; 4-byte Folded Spill
	s_nop 0
	buffer_store_dword v49, off, s[24:27], 0 offset:260 ; 4-byte Folded Spill
	buffer_store_dword v50, off, s[24:27], 0 offset:264 ; 4-byte Folded Spill
	;; [unrolled: 1-line block ×3, first 2 shown]
	s_mov_b32 s6, 0xaaab
	v_mul_u32_u24_e32 v20, 9, v20
	v_add_lshl_u32 v20, v20, v21, 4
	s_waitcnt lgkmcnt(13)
	v_mul_f64 v[34:35], v[24:25], v[55:56]
	v_fma_f64 v[34:35], v[22:23], v[53:54], -v[34:35]
	v_mul_f64 v[22:23], v[22:23], v[55:56]
	v_fma_f64 v[44:45], v[24:25], v[53:54], v[22:23]
	s_waitcnt lgkmcnt(12)
	v_mul_f64 v[22:23], v[28:29], v[50:51]
	v_fma_f64 v[46:47], v[26:27], v[48:49], -v[22:23]
	v_mul_f64 v[22:23], v[26:27], v[50:51]
	v_fma_f64 v[48:49], v[28:29], v[48:49], v[22:23]
	v_mul_u32_u24_sdwa v22, v36, s6 dst_sel:DWORD dst_unused:UNUSED_PAD src0_sel:WORD_0 src1_sel:DWORD
	v_lshrrev_b32_e32 v22, 17, v22
	v_mul_lo_u16_e32 v23, 3, v22
	v_sub_u16_e32 v23, v36, v23
	v_lshlrev_b16_e32 v24, 1, v23
	v_lshlrev_b32_e32 v24, 4, v24
	global_load_dwordx4 v[26:29], v24, s[10:11] offset:16
	s_waitcnt vmcnt(0)
	buffer_store_dword v26, off, s[24:27], 0 offset:304 ; 4-byte Folded Spill
	s_nop 0
	buffer_store_dword v27, off, s[24:27], 0 offset:308 ; 4-byte Folded Spill
	buffer_store_dword v28, off, s[24:27], 0 offset:312 ; 4-byte Folded Spill
	buffer_store_dword v29, off, s[24:27], 0 offset:316 ; 4-byte Folded Spill
	global_load_dwordx4 v[53:56], v24, s[10:11]
	s_waitcnt vmcnt(0)
	buffer_store_dword v53, off, s[24:27], 0 offset:320 ; 4-byte Folded Spill
	s_nop 0
	buffer_store_dword v54, off, s[24:27], 0 offset:324 ; 4-byte Folded Spill
	buffer_store_dword v55, off, s[24:27], 0 offset:328 ; 4-byte Folded Spill
	buffer_store_dword v56, off, s[24:27], 0 offset:332 ; 4-byte Folded Spill
	s_waitcnt lgkmcnt(10)
	v_mul_f64 v[24:25], v[32:33], v[55:56]
	v_fma_f64 v[50:51], v[30:31], v[53:54], -v[24:25]
	v_mul_f64 v[24:25], v[30:31], v[55:56]
	v_fma_f64 v[53:54], v[32:33], v[53:54], v[24:25]
	s_waitcnt lgkmcnt(9)
	v_mul_f64 v[24:25], v[42:43], v[28:29]
	v_fma_f64 v[55:56], v[40:41], v[26:27], -v[24:25]
	v_mul_f64 v[24:25], v[40:41], v[28:29]
	v_fma_f64 v[57:58], v[42:43], v[26:27], v[24:25]
	v_mul_u32_u24_sdwa v24, v236, s6 dst_sel:DWORD dst_unused:UNUSED_PAD src0_sel:WORD_0 src1_sel:DWORD
	v_lshrrev_b32_e32 v24, 17, v24
	v_mul_lo_u16_e32 v25, 3, v24
	v_sub_u16_e32 v25, v236, v25
	v_lshlrev_b16_e32 v26, 1, v25
	v_lshlrev_b32_e32 v26, 4, v26
	global_load_dwordx4 v[28:31], v26, s[10:11] offset:16
	s_waitcnt vmcnt(0)
	buffer_store_dword v28, off, s[24:27], 0 offset:336 ; 4-byte Folded Spill
	s_nop 0
	buffer_store_dword v29, off, s[24:27], 0 offset:340 ; 4-byte Folded Spill
	buffer_store_dword v30, off, s[24:27], 0 offset:344 ; 4-byte Folded Spill
	buffer_store_dword v31, off, s[24:27], 0 offset:348 ; 4-byte Folded Spill
	global_load_dwordx4 v[39:42], v26, s[10:11]
	s_waitcnt vmcnt(0)
	buffer_store_dword v39, off, s[24:27], 0 offset:352 ; 4-byte Folded Spill
	s_nop 0
	buffer_store_dword v40, off, s[24:27], 0 offset:356 ; 4-byte Folded Spill
	buffer_store_dword v41, off, s[24:27], 0 offset:360 ; 4-byte Folded Spill
	buffer_store_dword v42, off, s[24:27], 0 offset:364 ; 4-byte Folded Spill
	;; [unrolled: 30-line block ×3, first 2 shown]
	s_waitcnt lgkmcnt(4)
	v_mul_f64 v[28:29], v[94:95], v[41:42]
	v_fma_f64 v[67:68], v[92:93], v[39:40], -v[28:29]
	v_mul_f64 v[28:29], v[92:93], v[41:42]
	v_fma_f64 v[69:70], v[94:95], v[39:40], v[28:29]
	s_waitcnt lgkmcnt(3)
	v_mul_f64 v[28:29], v[102:103], v[32:33]
	v_fma_f64 v[71:72], v[100:101], v[30:31], -v[28:29]
	v_mul_f64 v[28:29], v[100:101], v[32:33]
	v_add_f64 v[32:33], v[34:35], v[46:47]
	v_fma_f64 v[73:74], v[102:103], v[30:31], v[28:29]
	v_mul_u32_u24_sdwa v28, v106, s6 dst_sel:DWORD dst_unused:UNUSED_PAD src0_sel:WORD_0 src1_sel:DWORD
	v_lshrrev_b32_e32 v28, 17, v28
	v_mul_lo_u16_e32 v29, 3, v28
	v_sub_u16_e32 v29, v106, v29
	v_lshlrev_b16_e32 v30, 1, v29
	v_lshlrev_b32_e32 v30, 4, v30
	global_load_dwordx4 v[39:42], v30, s[10:11] offset:16
	s_waitcnt vmcnt(0)
	buffer_store_dword v39, off, s[24:27], 0 offset:472 ; 4-byte Folded Spill
	s_nop 0
	buffer_store_dword v40, off, s[24:27], 0 offset:476 ; 4-byte Folded Spill
	buffer_store_dword v41, off, s[24:27], 0 offset:480 ; 4-byte Folded Spill
	;; [unrolled: 1-line block ×3, first 2 shown]
	global_load_dwordx4 v[112:115], v30, s[10:11]
	v_fma_f64 v[32:33], v[32:33], -0.5, v[16:17]
	s_waitcnt vmcnt(0) lgkmcnt(0)
	s_barrier
	buffer_store_dword v20, off, s[24:27], 0 offset:492 ; 4-byte Folded Spill
	s_mov_b32 s6, 0xe38f
	v_mul_f64 v[30:31], v[110:111], v[114:115]
	v_fma_f64 v[75:76], v[108:109], v[112:113], -v[30:31]
	v_mul_f64 v[30:31], v[108:109], v[114:115]
	v_fma_f64 v[81:82], v[110:111], v[112:113], v[30:31]
	v_mul_f64 v[30:31], v[118:119], v[41:42]
	v_fma_f64 v[83:84], v[116:117], v[39:40], -v[30:31]
	v_mul_f64 v[30:31], v[116:117], v[41:42]
	v_add_f64 v[42:43], v[44:45], v[48:49]
	v_fma_f64 v[85:86], v[118:119], v[39:40], v[30:31]
	v_add_f64 v[30:31], v[16:17], v[34:35]
	v_add_f64 v[40:41], v[44:45], -v[48:49]
	v_fma_f64 v[42:43], v[42:43], -0.5, v[18:19]
	v_add_f64 v[34:35], v[34:35], -v[46:47]
	v_add_f64 v[30:31], v[30:31], v[46:47]
	v_fma_f64 v[16:17], v[40:41], s[4:5], v[32:33]
	v_fma_f64 v[40:41], v[40:41], s[2:3], v[32:33]
	v_add_f64 v[32:33], v[18:19], v[44:45]
	v_fma_f64 v[18:19], v[34:35], s[2:3], v[42:43]
	v_fma_f64 v[42:43], v[34:35], s[4:5], v[42:43]
	v_add_f64 v[34:35], v[12:13], v[50:51]
	v_add_f64 v[44:45], v[53:54], -v[57:58]
	v_add_f64 v[32:33], v[32:33], v[48:49]
	ds_write_b128 v20, v[30:33]
	ds_write_b128 v20, v[16:19] offset:48
	ds_write_b128 v20, v[40:43] offset:96
	v_add_f64 v[88:89], v[34:35], v[55:56]
	v_add_f64 v[34:35], v[50:51], v[55:56]
	v_mad_legacy_u16 v16, v22, 9, v23
	v_lshlrev_b32_e32 v16, 4, v16
	v_mov_b32_e32 v20, 57
	buffer_store_dword v16, off, s[24:27], 0 offset:488 ; 4-byte Folded Spill
	v_mul_lo_u16_sdwa v20, v37, v20 dst_sel:DWORD dst_unused:UNUSED_PAD src0_sel:BYTE_0 src1_sel:DWORD
	v_lshrrev_b16_e32 v40, 9, v20
	v_mul_lo_u16_e32 v20, 9, v40
	v_fma_f64 v[34:35], v[34:35], -0.5, v[12:13]
	v_sub_u16_e32 v20, v37, v20
	v_and_b32_e32 v41, 0xff, v20
	v_lshlrev_b32_e32 v20, 6, v41
	v_fma_f64 v[12:13], v[44:45], s[4:5], v[34:35]
	v_fma_f64 v[92:93], v[44:45], s[2:3], v[34:35]
	v_add_f64 v[34:35], v[14:15], v[53:54]
	v_add_f64 v[44:45], v[50:51], -v[55:56]
	v_add_f64 v[90:91], v[34:35], v[57:58]
	v_add_f64 v[34:35], v[53:54], v[57:58]
	v_fma_f64 v[34:35], v[34:35], -0.5, v[14:15]
	v_fma_f64 v[14:15], v[44:45], s[2:3], v[34:35]
	v_fma_f64 v[94:95], v[44:45], s[4:5], v[34:35]
	v_add_f64 v[34:35], v[8:9], v[59:60]
	v_add_f64 v[44:45], v[61:62], -v[65:66]
	ds_write_b128 v16, v[88:91]
	ds_write_b128 v16, v[12:15] offset:48
	ds_write_b128 v16, v[92:95] offset:96
	v_mad_legacy_u16 v12, v24, 9, v25
	v_lshlrev_b32_e32 v12, 4, v12
	v_add_f64 v[100:101], v[34:35], v[63:64]
	v_add_f64 v[34:35], v[59:60], v[63:64]
	buffer_store_dword v12, off, s[24:27], 0 offset:468 ; 4-byte Folded Spill
	v_fma_f64 v[34:35], v[34:35], -0.5, v[8:9]
	v_fma_f64 v[8:9], v[44:45], s[4:5], v[34:35]
	v_fma_f64 v[108:109], v[44:45], s[2:3], v[34:35]
	v_add_f64 v[34:35], v[10:11], v[61:62]
	v_add_f64 v[44:45], v[59:60], -v[63:64]
	v_add_f64 v[102:103], v[34:35], v[65:66]
	v_add_f64 v[34:35], v[61:62], v[65:66]
	v_fma_f64 v[34:35], v[34:35], -0.5, v[10:11]
	v_fma_f64 v[10:11], v[44:45], s[2:3], v[34:35]
	v_fma_f64 v[110:111], v[44:45], s[4:5], v[34:35]
	v_add_f64 v[34:35], v[4:5], v[67:68]
	v_add_f64 v[44:45], v[69:70], -v[73:74]
	ds_write_b128 v12, v[100:103]
	ds_write_b128 v12, v[8:11] offset:48
	ds_write_b128 v12, v[108:111] offset:96
	v_mad_legacy_u16 v8, v26, 9, v27
	v_lshlrev_b32_e32 v8, 4, v8
	v_add_f64 v[116:117], v[34:35], v[71:72]
	v_add_f64 v[34:35], v[67:68], v[71:72]
	buffer_store_dword v8, off, s[24:27], 0 offset:464 ; 4-byte Folded Spill
	v_fma_f64 v[34:35], v[34:35], -0.5, v[4:5]
	v_fma_f64 v[4:5], v[44:45], s[4:5], v[34:35]
	v_fma_f64 v[120:121], v[44:45], s[2:3], v[34:35]
	v_add_f64 v[34:35], v[6:7], v[69:70]
	v_add_f64 v[44:45], v[67:68], -v[71:72]
	v_add_f64 v[118:119], v[34:35], v[73:74]
	v_add_f64 v[34:35], v[69:70], v[73:74]
	v_mov_b32_e32 v69, s11
	v_mov_b32_e32 v70, v106
	v_fma_f64 v[34:35], v[34:35], -0.5, v[6:7]
	v_fma_f64 v[6:7], v[44:45], s[2:3], v[34:35]
	v_fma_f64 v[122:123], v[44:45], s[4:5], v[34:35]
	v_add_f64 v[34:35], v[0:1], v[75:76]
	v_add_f64 v[44:45], v[81:82], -v[85:86]
	ds_write_b128 v8, v[116:119]
	ds_write_b128 v8, v[4:7] offset:48
	ds_write_b128 v8, v[120:123] offset:96
	v_mad_legacy_u16 v4, v28, 9, v29
	v_add_f64 v[124:125], v[34:35], v[83:84]
	v_add_f64 v[34:35], v[75:76], v[83:84]
	v_fma_f64 v[34:35], v[34:35], -0.5, v[0:1]
	v_fma_f64 v[0:1], v[44:45], s[4:5], v[34:35]
	v_fma_f64 v[128:129], v[44:45], s[2:3], v[34:35]
	v_add_f64 v[34:35], v[2:3], v[81:82]
	v_add_f64 v[44:45], v[75:76], -v[83:84]
	v_lshlrev_b32_e32 v83, 4, v4
	v_add_f64 v[126:127], v[34:35], v[85:86]
	v_add_f64 v[34:35], v[81:82], v[85:86]
	v_fma_f64 v[34:35], v[34:35], -0.5, v[2:3]
	v_fma_f64 v[2:3], v[44:45], s[2:3], v[34:35]
	v_fma_f64 v[130:131], v[44:45], s[4:5], v[34:35]
	ds_write_b128 v83, v[124:127]
	ds_write_b128 v83, v[0:3] offset:48
	ds_write_b128 v83, v[128:131] offset:96
	s_waitcnt vmcnt(0) lgkmcnt(0)
	s_barrier
	ds_read_b128 v[148:151], v38
	ds_read_b128 v[12:15], v38 offset:6480
	ds_read_b128 v[16:19], v38 offset:12960
	;; [unrolled: 1-line block ×14, first 2 shown]
	global_load_dwordx4 v[47:50], v20, s[10:11] offset:144
	global_load_dwordx4 v[53:56], v20, s[10:11] offset:128
	global_load_dwordx4 v[57:60], v20, s[10:11] offset:112
	global_load_dwordx4 v[61:64], v20, s[10:11] offset:96
	s_waitcnt vmcnt(0)
	buffer_store_dword v61, off, s[24:27], 0 offset:448 ; 4-byte Folded Spill
	s_nop 0
	buffer_store_dword v62, off, s[24:27], 0 offset:452 ; 4-byte Folded Spill
	buffer_store_dword v63, off, s[24:27], 0 offset:456 ; 4-byte Folded Spill
	buffer_store_dword v64, off, s[24:27], 0 offset:460 ; 4-byte Folded Spill
	buffer_store_dword v57, off, s[24:27], 0 offset:432 ; 4-byte Folded Spill
	s_nop 0
	buffer_store_dword v58, off, s[24:27], 0 offset:436 ; 4-byte Folded Spill
	buffer_store_dword v59, off, s[24:27], 0 offset:440 ; 4-byte Folded Spill
	buffer_store_dword v60, off, s[24:27], 0 offset:444 ; 4-byte Folded Spill
	;; [unrolled: 5-line block ×3, first 2 shown]
	s_waitcnt lgkmcnt(13)
	v_mul_f64 v[20:21], v[14:15], v[63:64]
	v_fma_f64 v[45:46], v[12:13], v[61:62], -v[20:21]
	v_mul_f64 v[12:13], v[12:13], v[63:64]
	v_fma_f64 v[20:21], v[14:15], v[61:62], v[12:13]
	s_waitcnt lgkmcnt(12)
	v_mul_f64 v[12:13], v[18:19], v[59:60]
	v_fma_f64 v[14:15], v[16:17], v[57:58], -v[12:13]
	v_mul_f64 v[12:13], v[16:17], v[59:60]
	v_add_f64 v[16:17], v[45:46], -v[14:15]
	v_fma_f64 v[22:23], v[18:19], v[57:58], v[12:13]
	s_waitcnt lgkmcnt(11)
	v_mul_f64 v[12:13], v[26:27], v[55:56]
	v_add_f64 v[59:60], v[14:15], -v[45:46]
	v_fma_f64 v[18:19], v[24:25], v[53:54], -v[12:13]
	v_mul_f64 v[12:13], v[24:25], v[55:56]
	v_fma_f64 v[24:25], v[26:27], v[53:54], v[12:13]
	v_mov_b32_e32 v56, v50
	v_mov_b32_e32 v55, v49
	;; [unrolled: 1-line block ×4, first 2 shown]
	buffer_store_dword v53, off, s[24:27], 0 offset:400 ; 4-byte Folded Spill
	s_nop 0
	buffer_store_dword v54, off, s[24:27], 0 offset:404 ; 4-byte Folded Spill
	buffer_store_dword v55, off, s[24:27], 0 offset:408 ; 4-byte Folded Spill
	;; [unrolled: 1-line block ×3, first 2 shown]
	v_mov_b32_e32 v50, v105
	s_waitcnt lgkmcnt(10)
	v_mul_f64 v[12:13], v[30:31], v[55:56]
	v_fma_f64 v[48:49], v[28:29], v[53:54], -v[12:13]
	v_mul_f64 v[12:13], v[28:29], v[55:56]
	v_add_f64 v[55:56], v[22:23], -v[24:25]
	v_add_f64 v[57:58], v[48:49], -v[18:19]
	v_fma_f64 v[28:29], v[30:31], v[53:54], v[12:13]
	v_mul_u32_u24_sdwa v12, v36, s6 dst_sel:DWORD dst_unused:UNUSED_PAD src0_sel:WORD_0 src1_sel:DWORD
	v_lshrrev_b32_e32 v42, 19, v12
	v_mul_lo_u16_e32 v12, 9, v42
	v_sub_u16_e32 v43, v36, v12
	v_lshlrev_b16_e32 v12, 6, v43
	v_add_co_u32_e32 v12, vcc, s10, v12
	v_addc_co_u32_e32 v13, vcc, 0, v69, vcc
	global_load_dwordx4 v[108:111], v[12:13], off offset:144
	global_load_dwordx4 v[101:104], v[12:13], off offset:128
	;; [unrolled: 1-line block ×4, first 2 shown]
	v_add_f64 v[53:54], v[20:21], -v[28:29]
	v_add_f64 v[57:58], v[16:17], v[57:58]
	v_add_f64 v[61:62], v[18:19], -v[48:49]
	v_add_f64 v[59:60], v[59:60], v[61:62]
	s_waitcnt vmcnt(0) lgkmcnt(8)
	v_mul_f64 v[12:13], v[34:35], v[94:95]
	v_fma_f64 v[26:27], v[32:33], v[92:93], -v[12:13]
	v_mul_f64 v[12:13], v[32:33], v[94:95]
	v_fma_f64 v[30:31], v[34:35], v[92:93], v[12:13]
	s_waitcnt lgkmcnt(7)
	v_mul_f64 v[12:13], v[134:135], v[99:100]
	v_fma_f64 v[158:159], v[132:133], v[97:98], -v[12:13]
	v_mul_f64 v[12:13], v[132:133], v[99:100]
	v_fma_f64 v[162:163], v[134:135], v[97:98], v[12:13]
	s_waitcnt lgkmcnt(6)
	v_mul_f64 v[12:13], v[138:139], v[103:104]
	v_fma_f64 v[176:177], v[136:137], v[101:102], -v[12:13]
	v_mul_f64 v[12:13], v[136:137], v[103:104]
	v_fma_f64 v[164:165], v[138:139], v[101:102], v[12:13]
	s_waitcnt lgkmcnt(5)
	v_mul_f64 v[12:13], v[142:143], v[110:111]
	v_fma_f64 v[178:179], v[140:141], v[108:109], -v[12:13]
	v_mul_f64 v[12:13], v[140:141], v[110:111]
	v_fma_f64 v[166:167], v[142:143], v[108:109], v[12:13]
	v_mul_u32_u24_sdwa v12, v236, s6 dst_sel:DWORD dst_unused:UNUSED_PAD src0_sel:WORD_0 src1_sel:DWORD
	v_lshrrev_b32_e32 v44, 19, v12
	v_mul_lo_u16_e32 v12, 9, v44
	v_sub_u16_e32 v47, v236, v12
	v_lshlrev_b16_e32 v12, 6, v47
	v_add_co_u32_e32 v12, vcc, s10, v12
	v_addc_co_u32_e32 v13, vcc, 0, v69, vcc
	global_load_dwordx4 v[88:91], v[12:13], off offset:144
	global_load_dwordx4 v[84:87], v[12:13], off offset:128
	;; [unrolled: 1-line block ×4, first 2 shown]
	s_mov_b32 s6, 0x372fe950
	s_mov_b32 s7, 0x3fd3c6ef
	s_waitcnt vmcnt(0) lgkmcnt(0)
	s_barrier
	v_mul_f64 v[12:13], v[154:155], v[146:147]
	v_fma_f64 v[168:169], v[152:153], v[144:145], -v[12:13]
	v_mul_f64 v[12:13], v[152:153], v[146:147]
	v_fma_f64 v[32:33], v[154:155], v[144:145], v[12:13]
	v_mul_f64 v[12:13], v[174:175], v[142:143]
	v_fma_f64 v[170:171], v[172:173], v[140:141], -v[12:13]
	v_mul_f64 v[12:13], v[172:173], v[142:143]
	v_fma_f64 v[34:35], v[174:175], v[140:141], v[12:13]
	;; [unrolled: 4-line block ×4, first 2 shown]
	v_add_f64 v[10:11], v[14:15], v[18:19]
	v_add_f64 v[8:9], v[148:149], v[45:46]
	v_fma_f64 v[10:11], v[10:11], -0.5, v[148:149]
	v_add_f64 v[8:9], v[8:9], v[14:15]
	v_fma_f64 v[12:13], v[53:54], s[8:9], v[10:11]
	v_fma_f64 v[10:11], v[53:54], s[18:19], v[10:11]
	v_add_f64 v[8:9], v[8:9], v[18:19]
	v_fma_f64 v[12:13], v[55:56], s[16:17], v[12:13]
	v_fma_f64 v[10:11], v[55:56], s[14:15], v[10:11]
	;; [unrolled: 3-line block ×3, first 2 shown]
	v_add_f64 v[10:11], v[45:46], v[48:49]
	v_add_f64 v[45:46], v[45:46], -v[48:49]
	v_fma_f64 v[10:11], v[10:11], -0.5, v[148:149]
	v_fma_f64 v[57:58], v[55:56], s[18:19], v[10:11]
	v_fma_f64 v[10:11], v[55:56], s[8:9], v[10:11]
	v_add_f64 v[55:56], v[14:15], -v[18:19]
	v_add_f64 v[18:19], v[20:21], -v[22:23]
	v_fma_f64 v[57:58], v[53:54], s[16:17], v[57:58]
	v_fma_f64 v[10:11], v[53:54], s[14:15], v[10:11]
	v_add_f64 v[53:54], v[22:23], v[24:25]
	v_fma_f64 v[148:149], v[59:60], s[6:7], v[57:58]
	v_fma_f64 v[152:153], v[59:60], s[6:7], v[10:11]
	v_fma_f64 v[53:54], v[53:54], -0.5, v[150:151]
	v_add_f64 v[10:11], v[150:151], v[20:21]
	v_add_f64 v[57:58], v[166:167], -v[164:165]
	v_add_f64 v[59:60], v[174:175], -v[172:173]
	v_fma_f64 v[48:49], v[45:46], s[18:19], v[53:54]
	v_add_f64 v[10:11], v[10:11], v[22:23]
	v_fma_f64 v[14:15], v[55:56], s[14:15], v[48:49]
	v_add_f64 v[48:49], v[28:29], -v[24:25]
	v_add_f64 v[10:11], v[10:11], v[24:25]
	v_add_f64 v[48:49], v[18:19], v[48:49]
	;; [unrolled: 1-line block ×3, first 2 shown]
	v_fma_f64 v[18:19], v[48:49], s[6:7], v[14:15]
	v_fma_f64 v[14:15], v[45:46], s[8:9], v[53:54]
	;; [unrolled: 1-line block ×4, first 2 shown]
	v_add_f64 v[48:49], v[20:21], v[28:29]
	v_add_f64 v[20:21], v[22:23], -v[20:21]
	v_add_f64 v[22:23], v[24:25], -v[28:29]
	;; [unrolled: 1-line block ×3, first 2 shown]
	v_fma_f64 v[48:49], v[48:49], -0.5, v[150:151]
	v_add_f64 v[20:21], v[20:21], v[22:23]
	v_fma_f64 v[22:23], v[55:56], s[18:19], v[48:49]
	v_fma_f64 v[53:54], v[55:56], s[8:9], v[48:49]
	v_add_f64 v[48:49], v[26:27], -v[158:159]
	v_add_f64 v[55:56], v[30:31], -v[162:163]
	v_fma_f64 v[22:23], v[45:46], s[16:17], v[22:23]
	v_fma_f64 v[53:54], v[45:46], s[14:15], v[53:54]
	v_add_f64 v[45:46], v[162:163], -v[164:165]
	v_add_f64 v[55:56], v[55:56], v[57:58]
	v_add_f64 v[57:58], v[168:169], -v[170:171]
	v_fma_f64 v[154:155], v[20:21], s[6:7], v[22:23]
	v_add_f64 v[22:23], v[158:159], v[176:177]
	v_fma_f64 v[150:151], v[20:21], s[6:7], v[53:54]
	v_add_f64 v[53:54], v[178:179], -v[176:177]
	v_add_f64 v[20:21], v[4:5], v[26:27]
	v_add_f64 v[57:58], v[57:58], v[59:60]
	v_add_f64 v[59:60], v[160:161], -v[180:181]
	v_fma_f64 v[22:23], v[22:23], -0.5, v[4:5]
	v_add_f64 v[48:49], v[48:49], v[53:54]
	v_add_f64 v[53:54], v[176:177], -v[178:179]
	v_add_f64 v[20:21], v[20:21], v[158:159]
	v_fma_f64 v[24:25], v[28:29], s[8:9], v[22:23]
	v_fma_f64 v[22:23], v[28:29], s[18:19], v[22:23]
	v_add_f64 v[20:21], v[20:21], v[176:177]
	v_fma_f64 v[24:25], v[45:46], s[16:17], v[24:25]
	v_fma_f64 v[22:23], v[45:46], s[14:15], v[22:23]
	;; [unrolled: 3-line block ×3, first 2 shown]
	v_add_f64 v[22:23], v[26:27], v[178:179]
	v_add_f64 v[48:49], v[158:159], -v[26:27]
	v_fma_f64 v[22:23], v[22:23], -0.5, v[4:5]
	v_add_f64 v[48:49], v[48:49], v[53:54]
	v_add_f64 v[53:54], v[158:159], -v[176:177]
	v_fma_f64 v[4:5], v[45:46], s[18:19], v[22:23]
	v_fma_f64 v[22:23], v[45:46], s[8:9], v[22:23]
	v_add_f64 v[45:46], v[162:163], v[164:165]
	v_fma_f64 v[4:5], v[28:29], s[16:17], v[4:5]
	v_fma_f64 v[22:23], v[28:29], s[14:15], v[22:23]
	v_fma_f64 v[45:46], v[45:46], -0.5, v[6:7]
	v_fma_f64 v[4:5], v[48:49], s[6:7], v[4:5]
	v_fma_f64 v[28:29], v[48:49], s[6:7], v[22:23]
	v_add_f64 v[48:49], v[26:27], -v[178:179]
	v_add_f64 v[22:23], v[6:7], v[30:31]
	v_fma_f64 v[26:27], v[48:49], s[18:19], v[45:46]
	v_fma_f64 v[45:46], v[48:49], s[8:9], v[45:46]
	v_add_f64 v[22:23], v[22:23], v[162:163]
	v_fma_f64 v[26:27], v[53:54], s[14:15], v[26:27]
	v_fma_f64 v[45:46], v[53:54], s[16:17], v[45:46]
	;; [unrolled: 3-line block ×3, first 2 shown]
	v_add_f64 v[45:46], v[30:31], v[166:167]
	v_add_f64 v[30:31], v[162:163], -v[30:31]
	v_add_f64 v[55:56], v[164:165], -v[166:167]
	v_add_f64 v[22:23], v[22:23], v[166:167]
	v_fma_f64 v[45:46], v[45:46], -0.5, v[6:7]
	v_add_f64 v[30:31], v[30:31], v[55:56]
	v_add_f64 v[55:56], v[34:35], -v[180:181]
	v_fma_f64 v[6:7], v[53:54], s[8:9], v[45:46]
	v_fma_f64 v[45:46], v[53:54], s[18:19], v[45:46]
	;; [unrolled: 1-line block ×4, first 2 shown]
	v_add_f64 v[48:49], v[32:33], -v[160:161]
	v_fma_f64 v[6:7], v[30:31], s[6:7], v[6:7]
	v_fma_f64 v[30:31], v[30:31], s[6:7], v[45:46]
	v_add_f64 v[45:46], v[0:1], v[168:169]
	v_add_f64 v[45:46], v[45:46], v[170:171]
	;; [unrolled: 1-line block ×5, first 2 shown]
	v_fma_f64 v[45:46], v[45:46], -0.5, v[0:1]
	v_fma_f64 v[53:54], v[48:49], s[8:9], v[45:46]
	v_fma_f64 v[45:46], v[48:49], s[18:19], v[45:46]
	;; [unrolled: 1-line block ×6, first 2 shown]
	v_add_f64 v[45:46], v[168:169], v[174:175]
	v_add_f64 v[53:54], v[170:171], -v[168:169]
	v_add_f64 v[57:58], v[172:173], -v[174:175]
	v_fma_f64 v[45:46], v[45:46], -0.5, v[0:1]
	v_add_f64 v[53:54], v[53:54], v[57:58]
	v_add_f64 v[57:58], v[32:33], -v[34:35]
	v_fma_f64 v[0:1], v[55:56], s[18:19], v[45:46]
	v_fma_f64 v[45:46], v[55:56], s[8:9], v[45:46]
	v_add_f64 v[55:56], v[170:171], -v[172:173]
	v_add_f64 v[57:58], v[57:58], v[59:60]
	v_fma_f64 v[0:1], v[48:49], s[16:17], v[0:1]
	v_fma_f64 v[45:46], v[48:49], s[14:15], v[45:46]
	v_add_f64 v[48:49], v[168:169], -v[174:175]
	v_fma_f64 v[0:1], v[53:54], s[6:7], v[0:1]
	v_fma_f64 v[182:183], v[53:54], s[6:7], v[45:46]
	v_add_f64 v[45:46], v[2:3], v[32:33]
	v_add_f64 v[45:46], v[45:46], v[34:35]
	;; [unrolled: 1-line block ×5, first 2 shown]
	v_fma_f64 v[45:46], v[45:46], -0.5, v[2:3]
	v_fma_f64 v[53:54], v[48:49], s[18:19], v[45:46]
	v_fma_f64 v[45:46], v[48:49], s[8:9], v[45:46]
	v_fma_f64 v[53:54], v[55:56], s[14:15], v[53:54]
	v_fma_f64 v[45:46], v[55:56], s[16:17], v[45:46]
	v_fma_f64 v[168:169], v[57:58], s[6:7], v[53:54]
	v_fma_f64 v[178:179], v[57:58], s[6:7], v[45:46]
	v_add_f64 v[45:46], v[32:33], v[160:161]
	v_add_f64 v[32:33], v[34:35], -v[32:33]
	v_add_f64 v[34:35], v[180:181], -v[160:161]
	v_fma_f64 v[45:46], v[45:46], -0.5, v[2:3]
	v_add_f64 v[32:33], v[32:33], v[34:35]
	v_fma_f64 v[2:3], v[55:56], s[8:9], v[45:46]
	v_fma_f64 v[34:35], v[55:56], s[18:19], v[45:46]
	v_fma_f64 v[2:3], v[48:49], s[14:15], v[2:3]
	v_fma_f64 v[34:35], v[48:49], s[16:17], v[34:35]
	v_fma_f64 v[2:3], v[32:33], s[6:7], v[2:3]
	v_fma_f64 v[184:185], v[32:33], s[6:7], v[34:35]
	v_mul_u32_u24_e32 v32, 45, v40
	v_add_lshl_u32 v32, v32, v41, 4
	buffer_store_dword v32, off, s[24:27], 0 offset:524 ; 4-byte Folded Spill
	ds_write_b128 v32, v[8:11]
	ds_write_b128 v32, v[16:19] offset:144
	ds_write_b128 v32, v[148:151] offset:288
	;; [unrolled: 1-line block ×4, first 2 shown]
	v_mul_lo_u16_sdwa v16, v37, s22 dst_sel:DWORD dst_unused:UNUSED_PAD src0_sel:BYTE_0 src1_sel:DWORD
	v_sub_u16_sdwa v17, v37, v16 dst_sel:DWORD dst_unused:UNUSED_PAD src0_sel:DWORD src1_sel:BYTE_1
	v_lshrrev_b16_e32 v17, 1, v17
	v_and_b32_e32 v17, 0x7f, v17
	v_add_u16_sdwa v16, v17, v16 dst_sel:DWORD dst_unused:UNUSED_PAD src0_sel:DWORD src1_sel:BYTE_1
	v_lshrrev_b16_e32 v40, 5, v16
	v_mad_legacy_u16 v8, v42, 45, v43
	v_mul_lo_u16_e32 v16, 45, v40
	v_lshlrev_b32_e32 v8, 4, v8
	v_sub_u16_e32 v16, v37, v16
	buffer_store_dword v8, off, s[24:27], 0 offset:504 ; 4-byte Folded Spill
	ds_write_b128 v8, v[20:23]
	ds_write_b128 v8, v[24:27] offset:144
	ds_write_b128 v8, v[4:7] offset:288
	;; [unrolled: 1-line block ×4, first 2 shown]
	v_mad_legacy_u16 v4, v44, 45, v47
	v_and_b32_e32 v43, 0xff, v16
	v_lshlrev_b32_e32 v4, 4, v4
	v_lshlrev_b32_e32 v16, 6, v43
	buffer_store_dword v4, off, s[24:27], 0 offset:496 ; 4-byte Folded Spill
	ds_write_b128 v4, v[162:165]
	ds_write_b128 v4, v[166:169] offset:144
	ds_write_b128 v4, v[0:3] offset:288
	;; [unrolled: 1-line block ×4, first 2 shown]
	s_waitcnt vmcnt(0) lgkmcnt(0)
	s_barrier
	ds_read_b128 v[18:21], v38
	ds_read_b128 v[8:11], v38 offset:6480
	ds_read_b128 v[12:15], v38 offset:12960
	;; [unrolled: 1-line block ×14, first 2 shown]
	global_load_dwordx4 v[148:151], v16, s[10:11] offset:720
	global_load_dwordx4 v[152:155], v16, s[10:11] offset:704
	;; [unrolled: 1-line block ×4, first 2 shown]
	s_movk_i32 s22, 0x2d83
	s_waitcnt vmcnt(0) lgkmcnt(13)
	v_mul_f64 v[16:17], v[10:11], v[166:167]
	v_fma_f64 v[41:42], v[8:9], v[164:165], -v[16:17]
	v_mul_f64 v[8:9], v[8:9], v[166:167]
	v_fma_f64 v[22:23], v[10:11], v[164:165], v[8:9]
	s_waitcnt lgkmcnt(12)
	v_mul_f64 v[8:9], v[14:15], v[158:159]
	v_fma_f64 v[44:45], v[12:13], v[156:157], -v[8:9]
	v_mul_f64 v[8:9], v[12:13], v[158:159]
	v_add_f64 v[16:17], v[41:42], -v[44:45]
	v_fma_f64 v[24:25], v[14:15], v[156:157], v[8:9]
	s_waitcnt lgkmcnt(11)
	v_mul_f64 v[8:9], v[28:29], v[154:155]
	v_fma_f64 v[14:15], v[26:27], v[152:153], -v[8:9]
	v_mul_f64 v[8:9], v[26:27], v[154:155]
	v_add_f64 v[10:11], v[44:45], v[14:15]
	v_fma_f64 v[26:27], v[28:29], v[152:153], v[8:9]
	s_waitcnt lgkmcnt(10)
	v_mul_f64 v[8:9], v[32:33], v[150:151]
	v_fma_f64 v[10:11], v[10:11], -0.5, v[18:19]
	v_add_f64 v[63:64], v[24:25], -v[26:27]
	v_fma_f64 v[48:49], v[30:31], v[148:149], -v[8:9]
	v_mul_f64 v[8:9], v[30:31], v[150:151]
	v_add_f64 v[65:66], v[48:49], -v[14:15]
	v_fma_f64 v[162:163], v[32:33], v[148:149], v[8:9]
	v_mul_u32_u24_sdwa v8, v36, s22 dst_sel:DWORD dst_unused:UNUSED_PAD src0_sel:WORD_0 src1_sel:DWORD
	v_lshrrev_b32_e32 v47, 19, v8
	v_mul_lo_u16_e32 v8, 45, v47
	v_sub_u16_e32 v51, v36, v8
	v_lshlrev_b16_e32 v8, 6, v51
	v_add_co_u32_e32 v8, vcc, s10, v8
	v_addc_co_u32_e32 v9, vcc, 0, v69, vcc
	global_load_dwordx4 v[168:171], v[8:9], off offset:720
	global_load_dwordx4 v[172:175], v[8:9], off offset:704
	;; [unrolled: 1-line block ×4, first 2 shown]
	v_add_f64 v[61:62], v[22:23], -v[162:163]
	v_add_f64 v[65:66], v[16:17], v[65:66]
	v_add_f64 v[67:68], v[14:15], -v[48:49]
	v_fma_f64 v[12:13], v[61:62], s[8:9], v[10:11]
	v_fma_f64 v[10:11], v[61:62], s[18:19], v[10:11]
	;; [unrolled: 1-line block ×6, first 2 shown]
	v_add_f64 v[10:11], v[41:42], v[48:49]
	v_add_f64 v[65:66], v[44:45], -v[41:42]
	v_fma_f64 v[10:11], v[10:11], -0.5, v[18:19]
	v_add_f64 v[65:66], v[65:66], v[67:68]
	s_waitcnt vmcnt(0) lgkmcnt(8)
	v_mul_f64 v[8:9], v[178:179], v[190:191]
	v_fma_f64 v[53:54], v[176:177], v[188:189], -v[8:9]
	v_mul_f64 v[8:9], v[176:177], v[190:191]
	v_fma_f64 v[194:195], v[178:179], v[188:189], v[8:9]
	s_waitcnt lgkmcnt(7)
	v_mul_f64 v[8:9], v[186:187], v[182:183]
	v_fma_f64 v[55:56], v[184:185], v[180:181], -v[8:9]
	v_mul_f64 v[8:9], v[184:185], v[182:183]
	v_fma_f64 v[202:203], v[186:187], v[180:181], v[8:9]
	s_waitcnt lgkmcnt(6)
	;; [unrolled: 5-line block ×3, first 2 shown]
	v_mul_f64 v[8:9], v[208:209], v[170:171]
	v_fma_f64 v[59:60], v[206:207], v[168:169], -v[8:9]
	v_mul_f64 v[8:9], v[206:207], v[170:171]
	v_fma_f64 v[206:207], v[208:209], v[168:169], v[8:9]
	v_mul_u32_u24_sdwa v8, v236, s22 dst_sel:DWORD dst_unused:UNUSED_PAD src0_sel:WORD_0 src1_sel:DWORD
	v_lshrrev_b32_e32 v214, 19, v8
	v_mul_lo_u16_e32 v8, 45, v214
	v_sub_u16_e32 v215, v236, v8
	v_lshlrev_b16_e32 v8, 6, v215
	v_add_co_u32_e32 v8, vcc, s10, v8
	v_addc_co_u32_e32 v9, vcc, 0, v69, vcc
	global_load_dwordx4 v[208:211], v[8:9], off offset:720
	global_load_dwordx4 v[216:219], v[8:9], off offset:704
	global_load_dwordx4 v[224:227], v[8:9], off offset:688
	global_load_dwordx4 v[244:247], v[8:9], off offset:672
	s_movk_i32 s22, 0xe1
	s_waitcnt vmcnt(0) lgkmcnt(0)
	s_barrier
	v_mul_f64 v[8:9], v[230:231], v[246:247]
	v_fma_f64 v[212:213], v[228:229], v[244:245], -v[8:9]
	v_mul_f64 v[8:9], v[228:229], v[246:247]
	v_fma_f64 v[28:29], v[230:231], v[244:245], v[8:9]
	v_mul_f64 v[8:9], v[234:235], v[226:227]
	v_fma_f64 v[196:197], v[232:233], v[224:225], -v[8:9]
	v_mul_f64 v[8:9], v[232:233], v[226:227]
	v_fma_f64 v[30:31], v[234:235], v[224:225], v[8:9]
	v_mul_f64 v[8:9], v[239:240], v[218:219]
	v_fma_f64 v[198:199], v[237:238], v[216:217], -v[8:9]
	v_mul_f64 v[8:9], v[237:238], v[218:219]
	v_fma_f64 v[32:33], v[239:240], v[216:217], v[8:9]
	v_mul_f64 v[8:9], v[250:251], v[210:211]
	v_fma_f64 v[200:201], v[248:249], v[208:209], -v[8:9]
	v_mul_f64 v[8:9], v[248:249], v[210:211]
	v_fma_f64 v[34:35], v[250:251], v[208:209], v[8:9]
	v_add_f64 v[8:9], v[18:19], v[41:42]
	v_fma_f64 v[18:19], v[63:64], s[18:19], v[10:11]
	v_fma_f64 v[10:11], v[63:64], s[8:9], v[10:11]
	v_add_f64 v[41:42], v[41:42], -v[48:49]
	v_add_f64 v[8:9], v[8:9], v[44:45]
	v_fma_f64 v[18:19], v[61:62], s[16:17], v[18:19]
	v_fma_f64 v[10:11], v[61:62], s[14:15], v[10:11]
	v_add_f64 v[44:45], v[44:45], -v[14:15]
	v_add_f64 v[8:9], v[8:9], v[14:15]
	v_fma_f64 v[176:177], v[65:66], s[6:7], v[18:19]
	v_add_f64 v[18:19], v[24:25], v[26:27]
	v_fma_f64 v[160:161], v[65:66], s[6:7], v[10:11]
	v_add_f64 v[10:11], v[20:21], v[22:23]
	v_add_f64 v[8:9], v[8:9], v[48:49]
	v_add_f64 v[48:49], v[162:163], -v[26:27]
	v_fma_f64 v[61:62], v[18:19], -0.5, v[20:21]
	v_add_f64 v[10:11], v[10:11], v[24:25]
	v_fma_f64 v[18:19], v[41:42], s[18:19], v[61:62]
	v_add_f64 v[10:11], v[10:11], v[26:27]
	v_fma_f64 v[14:15], v[44:45], s[14:15], v[18:19]
	v_add_f64 v[18:19], v[22:23], -v[24:25]
	v_add_f64 v[10:11], v[10:11], v[162:163]
	v_add_f64 v[48:49], v[18:19], v[48:49]
	v_fma_f64 v[18:19], v[48:49], s[6:7], v[14:15]
	v_fma_f64 v[14:15], v[41:42], s[8:9], v[61:62]
	v_fma_f64 v[14:15], v[44:45], s[16:17], v[14:15]
	v_fma_f64 v[14:15], v[48:49], s[6:7], v[14:15]
	v_add_f64 v[48:49], v[22:23], v[162:163]
	v_add_f64 v[22:23], v[24:25], -v[22:23]
	v_add_f64 v[24:25], v[26:27], -v[162:163]
	;; [unrolled: 1-line block ×3, first 2 shown]
	v_fma_f64 v[20:21], v[48:49], -0.5, v[20:21]
	v_add_f64 v[22:23], v[22:23], v[24:25]
	v_fma_f64 v[48:49], v[44:45], s[8:9], v[20:21]
	v_fma_f64 v[20:21], v[44:45], s[18:19], v[20:21]
	v_add_f64 v[44:45], v[53:54], -v[55:56]
	v_fma_f64 v[48:49], v[41:42], s[14:15], v[48:49]
	v_fma_f64 v[20:21], v[41:42], s[16:17], v[20:21]
	v_add_f64 v[41:42], v[202:203], -v[204:205]
	v_fma_f64 v[178:179], v[22:23], s[6:7], v[48:49]
	v_fma_f64 v[162:163], v[22:23], s[6:7], v[20:21]
	v_add_f64 v[22:23], v[55:56], v[57:58]
	v_add_f64 v[48:49], v[59:60], -v[57:58]
	v_add_f64 v[20:21], v[4:5], v[53:54]
	v_fma_f64 v[22:23], v[22:23], -0.5, v[4:5]
	v_add_f64 v[44:45], v[44:45], v[48:49]
	v_add_f64 v[48:49], v[57:58], -v[59:60]
	v_add_f64 v[20:21], v[20:21], v[55:56]
	v_fma_f64 v[24:25], v[26:27], s[8:9], v[22:23]
	v_fma_f64 v[22:23], v[26:27], s[18:19], v[22:23]
	v_add_f64 v[20:21], v[20:21], v[57:58]
	v_fma_f64 v[24:25], v[41:42], s[16:17], v[24:25]
	v_fma_f64 v[22:23], v[41:42], s[14:15], v[22:23]
	;; [unrolled: 3-line block ×3, first 2 shown]
	v_add_f64 v[22:23], v[53:54], v[59:60]
	v_add_f64 v[44:45], v[55:56], -v[53:54]
	v_fma_f64 v[4:5], v[22:23], -0.5, v[4:5]
	v_add_f64 v[44:45], v[44:45], v[48:49]
	v_add_f64 v[48:49], v[55:56], -v[57:58]
	v_add_f64 v[55:56], v[206:207], -v[204:205]
	;; [unrolled: 1-line block ×3, first 2 shown]
	v_fma_f64 v[22:23], v[41:42], s[18:19], v[4:5]
	v_fma_f64 v[4:5], v[41:42], s[8:9], v[4:5]
	v_add_f64 v[41:42], v[53:54], -v[59:60]
	v_add_f64 v[53:54], v[194:195], -v[202:203]
	v_fma_f64 v[22:23], v[26:27], s[16:17], v[22:23]
	v_fma_f64 v[4:5], v[26:27], s[14:15], v[4:5]
	v_add_f64 v[26:27], v[202:203], v[204:205]
	v_add_f64 v[53:54], v[53:54], v[55:56]
	v_add_f64 v[55:56], v[204:205], -v[206:207]
	v_fma_f64 v[192:193], v[44:45], s[6:7], v[22:23]
	v_fma_f64 v[4:5], v[44:45], s[6:7], v[4:5]
	v_fma_f64 v[26:27], v[26:27], -0.5, v[6:7]
	v_add_f64 v[22:23], v[6:7], v[194:195]
	v_fma_f64 v[44:45], v[41:42], s[18:19], v[26:27]
	v_fma_f64 v[26:27], v[41:42], s[8:9], v[26:27]
	v_add_f64 v[22:23], v[22:23], v[202:203]
	v_fma_f64 v[44:45], v[48:49], s[14:15], v[44:45]
	v_fma_f64 v[26:27], v[48:49], s[16:17], v[26:27]
	v_add_f64 v[22:23], v[22:23], v[204:205]
	v_fma_f64 v[186:187], v[53:54], s[6:7], v[44:45]
	v_add_f64 v[44:45], v[194:195], v[206:207]
	v_fma_f64 v[26:27], v[53:54], s[6:7], v[26:27]
	v_add_f64 v[53:54], v[202:203], -v[194:195]
	v_add_f64 v[22:23], v[22:23], v[206:207]
	v_fma_f64 v[6:7], v[44:45], -0.5, v[6:7]
	v_add_f64 v[53:54], v[53:54], v[55:56]
	v_add_f64 v[55:56], v[212:213], -v[196:197]
	v_fma_f64 v[44:45], v[48:49], s[8:9], v[6:7]
	v_fma_f64 v[6:7], v[48:49], s[18:19], v[6:7]
	v_add_f64 v[55:56], v[55:56], v[57:58]
	v_add_f64 v[57:58], v[34:35], -v[32:33]
	v_fma_f64 v[44:45], v[41:42], s[14:15], v[44:45]
	v_fma_f64 v[6:7], v[41:42], s[16:17], v[6:7]
	v_add_f64 v[41:42], v[0:1], v[212:213]
	v_fma_f64 v[194:195], v[53:54], s[6:7], v[44:45]
	v_add_f64 v[44:45], v[28:29], -v[34:35]
	v_add_f64 v[41:42], v[41:42], v[196:197]
	v_fma_f64 v[6:7], v[53:54], s[6:7], v[6:7]
	v_add_f64 v[53:54], v[30:31], -v[32:33]
	v_add_f64 v[41:42], v[41:42], v[198:199]
	v_add_f64 v[202:203], v[41:42], v[200:201]
	;; [unrolled: 1-line block ×3, first 2 shown]
	v_fma_f64 v[41:42], v[41:42], -0.5, v[0:1]
	v_fma_f64 v[48:49], v[44:45], s[8:9], v[41:42]
	v_fma_f64 v[41:42], v[44:45], s[18:19], v[41:42]
	;; [unrolled: 1-line block ×6, first 2 shown]
	v_add_f64 v[41:42], v[212:213], v[200:201]
	v_add_f64 v[48:49], v[196:197], -v[212:213]
	v_add_f64 v[55:56], v[198:199], -v[200:201]
	v_fma_f64 v[41:42], v[41:42], -0.5, v[0:1]
	v_add_f64 v[48:49], v[48:49], v[55:56]
	v_add_f64 v[55:56], v[28:29], -v[30:31]
	v_fma_f64 v[0:1], v[53:54], s[18:19], v[41:42]
	v_fma_f64 v[41:42], v[53:54], s[8:9], v[41:42]
	v_add_f64 v[53:54], v[196:197], -v[198:199]
	v_add_f64 v[55:56], v[55:56], v[57:58]
	v_fma_f64 v[0:1], v[44:45], s[16:17], v[0:1]
	v_fma_f64 v[41:42], v[44:45], s[14:15], v[41:42]
	v_add_f64 v[44:45], v[212:213], -v[200:201]
	v_fma_f64 v[0:1], v[48:49], s[6:7], v[0:1]
	v_fma_f64 v[237:238], v[48:49], s[6:7], v[41:42]
	v_add_f64 v[41:42], v[2:3], v[28:29]
	v_add_f64 v[41:42], v[41:42], v[30:31]
	;; [unrolled: 1-line block ×5, first 2 shown]
	v_fma_f64 v[41:42], v[41:42], -0.5, v[2:3]
	v_fma_f64 v[48:49], v[44:45], s[18:19], v[41:42]
	v_fma_f64 v[41:42], v[44:45], s[8:9], v[41:42]
	;; [unrolled: 1-line block ×6, first 2 shown]
	v_add_f64 v[41:42], v[28:29], v[34:35]
	v_add_f64 v[28:29], v[30:31], -v[28:29]
	v_add_f64 v[30:31], v[32:33], -v[34:35]
	v_mov_b32_e32 v49, v37
	v_fma_f64 v[41:42], v[41:42], -0.5, v[2:3]
	v_add_f64 v[28:29], v[28:29], v[30:31]
	v_fma_f64 v[2:3], v[53:54], s[8:9], v[41:42]
	v_fma_f64 v[30:31], v[53:54], s[18:19], v[41:42]
	;; [unrolled: 1-line block ×6, first 2 shown]
	v_mul_u32_u24_e32 v28, 0xe1, v40
	v_add_lshl_u32 v28, v28, v43, 4
	buffer_store_dword v28, off, s[24:27], 0 offset:528 ; 4-byte Folded Spill
	ds_write_b128 v28, v[8:11]
	ds_write_b128 v28, v[16:19] offset:720
	ds_write_b128 v28, v[176:179] offset:1440
	;; [unrolled: 1-line block ×4, first 2 shown]
	v_mad_legacy_u16 v8, v47, s22, v51
	v_lshlrev_b32_e32 v8, 4, v8
	buffer_store_dword v8, off, s[24:27], 0 offset:516 ; 4-byte Folded Spill
	ds_write_b128 v8, v[20:23]
	ds_write_b128 v8, v[184:187] offset:720
	ds_write_b128 v8, v[192:195] offset:1440
	;; [unrolled: 1-line block ×4, first 2 shown]
	v_mad_legacy_u16 v4, v214, s22, v215
	v_lshlrev_b32_e32 v4, 4, v4
	v_lshlrev_b32_e32 v16, 5, v37
	buffer_store_dword v4, off, s[24:27], 0 offset:500 ; 4-byte Folded Spill
	ds_write_b128 v4, v[202:205]
	ds_write_b128 v4, v[228:231] offset:720
	ds_write_b128 v4, v[0:3] offset:1440
	ds_write_b128 v4, v[237:240] offset:2160
	ds_write_b128 v4, v[232:235] offset:2880
	s_waitcnt vmcnt(0) lgkmcnt(0)
	s_barrier
	ds_read_b128 v[20:23], v38
	ds_read_b128 v[24:27], v38 offset:10800
	ds_read_b128 v[28:31], v38 offset:21600
	;; [unrolled: 1-line block ×14, first 2 shown]
	global_load_dwordx4 v[160:163], v16, s[10:11] offset:3568
	global_load_dwordx4 v[176:179], v16, s[10:11] offset:3552
	v_add_co_u32_e32 v237, vcc, s10, v16
	v_addc_co_u32_e32 v238, vcc, 0, v69, vcc
	s_movk_i32 s11, 0xffa6
	buffer_store_dword v49, off, s[24:27], 0 offset:248 ; 4-byte Folded Spill
	s_waitcnt vmcnt(1) lgkmcnt(13)
	v_mul_f64 v[16:17], v[26:27], v[178:179]
	v_fma_f64 v[18:19], v[24:25], v[176:177], -v[16:17]
	v_mul_f64 v[16:17], v[24:25], v[178:179]
	v_fma_f64 v[24:25], v[26:27], v[176:177], v[16:17]
	s_waitcnt lgkmcnt(12)
	v_mul_f64 v[16:17], v[30:31], v[162:163]
	v_fma_f64 v[26:27], v[28:29], v[160:161], -v[16:17]
	v_mul_f64 v[16:17], v[28:29], v[162:163]
	v_fma_f64 v[41:42], v[30:31], v[160:161], v[16:17]
	v_add_co_u32_e32 v16, vcc, s11, v37
	s_movk_i32 s11, 0x5a
	v_addc_co_u32_e64 v17, s[22:23], 0, -1, vcc
	v_cmp_gt_u16_e32 vcc, s11, v37
	v_cndmask_b32_e32 v17, v17, v52, vcc
	v_cndmask_b32_e32 v16, v16, v36, vcc
	v_lshlrev_b64 v[28:29], 5, v[16:17]
	s_movk_i32 s11, 0x1380
	v_add_co_u32_e32 v28, vcc, s10, v28
	v_addc_co_u32_e32 v29, vcc, v69, v29, vcc
	global_load_dwordx4 v[184:187], v[28:29], off offset:3568
	global_load_dwordx4 v[192:195], v[28:29], off offset:3552
	v_add_f64 v[118:119], v[24:25], -v[41:42]
	s_waitcnt vmcnt(0) lgkmcnt(10)
	v_mul_f64 v[28:29], v[34:35], v[194:195]
	v_fma_f64 v[43:44], v[32:33], v[192:193], -v[28:29]
	v_mul_f64 v[28:29], v[32:33], v[194:195]
	v_fma_f64 v[32:33], v[34:35], v[192:193], v[28:29]
	s_waitcnt lgkmcnt(9)
	v_mul_f64 v[28:29], v[198:199], v[186:187]
	v_fma_f64 v[34:35], v[196:197], v[184:185], -v[28:29]
	v_mul_f64 v[28:29], v[196:197], v[186:187]
	v_fma_f64 v[45:46], v[198:199], v[184:185], v[28:29]
	v_add_co_u32_e32 v28, vcc, s11, v237
	v_addc_co_u32_e32 v29, vcc, 0, v238, vcc
	v_add_co_u32_e32 v30, vcc, s21, v237
	v_addc_co_u32_e32 v31, vcc, 0, v238, vcc
	global_load_dwordx4 v[212:215], v[30:31], off offset:896
	global_load_dwordx4 v[200:203], v[28:29], off offset:16
	s_mov_b32 s11, 0x91a3
	v_mul_u32_u24_sdwa v17, v105, s11 dst_sel:DWORD dst_unused:UNUSED_PAD src0_sel:WORD_0 src1_sel:DWORD
	v_lshrrev_b32_e32 v37, 23, v17
	v_mul_lo_u16_e32 v17, 0xe1, v37
	v_sub_u16_e32 v39, v105, v17
	v_lshlrev_b16_e32 v17, 5, v39
	v_add_f64 v[30:31], v[18:19], v[26:27]
	v_fma_f64 v[30:31], v[30:31], -0.5, v[20:21]
	v_fma_f64 v[196:197], v[118:119], s[2:3], v[30:31]
	s_waitcnt vmcnt(1) lgkmcnt(7)
	v_mul_f64 v[28:29], v[206:207], v[214:215]
	v_fma_f64 v[47:48], v[204:205], v[212:213], -v[28:29]
	v_mul_f64 v[28:29], v[204:205], v[214:215]
	v_fma_f64 v[51:52], v[206:207], v[212:213], v[28:29]
	s_waitcnt vmcnt(0) lgkmcnt(6)
	v_mul_f64 v[28:29], v[230:231], v[202:203]
	v_fma_f64 v[53:54], v[228:229], v[200:201], -v[28:29]
	v_mul_f64 v[28:29], v[228:229], v[202:203]
	v_fma_f64 v[55:56], v[230:231], v[200:201], v[28:29]
	v_add_co_u32_e32 v28, vcc, s10, v17
	v_addc_co_u32_e32 v29, vcc, 0, v69, vcc
	global_load_dwordx4 v[228:231], v[28:29], off offset:3568
	global_load_dwordx4 v[240:243], v[28:29], off offset:3552
	v_mul_u32_u24_sdwa v17, v106, s11 dst_sel:DWORD dst_unused:UNUSED_PAD src0_sel:WORD_0 src1_sel:DWORD
	v_lshrrev_b32_e32 v17, 23, v17
	v_mul_lo_u16_e32 v17, 0xe1, v17
	v_sub_u16_e32 v40, v106, v17
	v_lshlrev_b16_e32 v17, 5, v40
	s_movk_i32 s11, 0x59
	s_waitcnt vmcnt(0) lgkmcnt(4)
	v_mul_f64 v[28:29], v[234:235], v[242:243]
	v_fma_f64 v[57:58], v[232:233], v[240:241], -v[28:29]
	v_mul_f64 v[28:29], v[232:233], v[242:243]
	v_fma_f64 v[59:60], v[234:235], v[240:241], v[28:29]
	s_waitcnt lgkmcnt(3)
	v_mul_f64 v[28:29], v[250:251], v[230:231]
	v_fma_f64 v[61:62], v[248:249], v[228:229], -v[28:29]
	v_mul_f64 v[28:29], v[248:249], v[230:231]
	v_fma_f64 v[63:64], v[250:251], v[228:229], v[28:29]
	v_add_co_u32_e32 v28, vcc, s10, v17
	v_addc_co_u32_e32 v29, vcc, 0, v69, vcc
	global_load_dwordx4 v[132:135], v[28:29], off offset:3568
	global_load_dwordx4 v[124:127], v[28:29], off offset:3552
	v_cmp_lt_u16_e32 vcc, s11, v49
	s_movk_i32 s11, 0x2a3
	s_waitcnt vmcnt(0) lgkmcnt(0)
	s_barrier
	v_mul_f64 v[28:29], v[254:255], v[126:127]
	v_fma_f64 v[65:66], v[252:253], v[124:125], -v[28:29]
	v_mul_f64 v[28:29], v[252:253], v[126:127]
	v_fma_f64 v[67:68], v[254:255], v[124:125], v[28:29]
	v_mul_f64 v[28:29], v[222:223], v[134:135]
	v_fma_f64 v[81:82], v[220:221], v[132:133], -v[28:29]
	v_mul_f64 v[28:29], v[220:221], v[134:135]
	v_fma_f64 v[116:117], v[222:223], v[132:133], v[28:29]
	v_add_f64 v[28:29], v[20:21], v[18:19]
	v_fma_f64 v[20:21], v[118:119], s[4:5], v[30:31]
	v_add_f64 v[30:31], v[22:23], v[24:25]
	v_add_f64 v[24:25], v[24:25], v[41:42]
	v_add_f64 v[17:18], v[18:19], -v[26:27]
	v_add_f64 v[28:29], v[28:29], v[26:27]
	v_add_f64 v[30:31], v[30:31], v[41:42]
	v_fma_f64 v[24:25], v[24:25], -0.5, v[22:23]
	v_fma_f64 v[22:23], v[17:18], s[2:3], v[24:25]
	v_fma_f64 v[198:199], v[17:18], s[4:5], v[24:25]
	v_add_f64 v[17:18], v[12:13], v[43:44]
	v_add_f64 v[24:25], v[32:33], -v[45:46]
	ds_write_b128 v38, v[28:31]
	ds_write_b128 v38, v[20:23] offset:3600
	ds_write_b128 v38, v[196:199] offset:7200
	v_add_f64 v[204:205], v[17:18], v[34:35]
	v_add_f64 v[17:18], v[43:44], v[34:35]
	v_fma_f64 v[17:18], v[17:18], -0.5, v[12:13]
	v_fma_f64 v[12:13], v[24:25], s[4:5], v[17:18]
	v_fma_f64 v[220:221], v[24:25], s[2:3], v[17:18]
	v_add_f64 v[17:18], v[14:15], v[32:33]
	v_add_f64 v[24:25], v[43:44], -v[34:35]
	v_add_f64 v[206:207], v[17:18], v[45:46]
	v_add_f64 v[17:18], v[32:33], v[45:46]
	v_fma_f64 v[17:18], v[17:18], -0.5, v[14:15]
	v_fma_f64 v[14:15], v[24:25], s[2:3], v[17:18]
	v_fma_f64 v[222:223], v[24:25], s[4:5], v[17:18]
	v_add_f64 v[17:18], v[8:9], v[47:48]
	v_add_f64 v[24:25], v[51:52], -v[55:56]
	;; [unrolled: 7-line block ×7, first 2 shown]
	v_add_f64 v[57:58], v[17:18], v[116:117]
	v_add_f64 v[17:18], v[67:68], v[116:117]
	v_fma_f64 v[17:18], v[17:18], -0.5, v[2:3]
	v_fma_f64 v[2:3], v[24:25], s[2:3], v[17:18]
	v_fma_f64 v[43:44], v[24:25], s[4:5], v[17:18]
	v_mov_b32_e32 v17, 0x2a3
	v_cndmask_b32_e32 v17, 0, v17, vcc
	v_add_lshl_u32 v16, v16, v17, 4
	buffer_store_dword v16, off, s[24:27], 0 offset:520 ; 4-byte Folded Spill
	ds_write_b128 v16, v[204:207]
	ds_write_b128 v16, v[12:15] offset:3600
	ds_write_b128 v16, v[220:223] offset:7200
	;; [unrolled: 1-line block ×5, first 2 shown]
	v_mad_legacy_u16 v8, v37, s11, v39
	s_movk_i32 s11, 0x2a00
	v_add_co_u32_e32 v59, vcc, s11, v237
	v_addc_co_u32_e32 v60, vcc, 0, v238, vcc
	v_lshlrev_b32_e32 v8, 4, v8
	v_add_co_u32_e32 v61, vcc, s20, v237
	buffer_store_dword v8, off, s[24:27], 0 offset:512 ; 4-byte Folded Spill
	ds_write_b128 v8, v[252:255]
	ds_write_b128 v8, v[4:7] offset:3600
	ds_write_b128 v8, v[51:54] offset:7200
	v_lshlrev_b32_e32 v4, 4, v40
	v_addc_co_u32_e32 v62, vcc, 0, v238, vcc
	buffer_store_dword v4, off, s[24:27], 0 offset:508 ; 4-byte Folded Spill
	ds_write_b128 v4, v[55:58] offset:21600
	ds_write_b128 v4, v[0:3] offset:25200
	ds_write_b128 v4, v[41:44] offset:28800
	s_waitcnt vmcnt(0) lgkmcnt(0)
	s_barrier
	ds_read_b128 v[41:44], v38
	ds_read_b128 v[20:23], v38 offset:10800
	ds_read_b128 v[28:31], v38 offset:21600
	;; [unrolled: 1-line block ×14, first 2 shown]
	global_load_dwordx4 v[204:207], v[61:62], off offset:2560
	global_load_dwordx4 v[196:199], v[59:60], off offset:16
	v_lshlrev_b32_e32 v39, 5, v50
	s_waitcnt vmcnt(1) lgkmcnt(13)
	v_mul_f64 v[59:60], v[22:23], v[206:207]
	v_fma_f64 v[63:64], v[20:21], v[204:205], -v[59:60]
	v_mul_f64 v[20:21], v[20:21], v[206:207]
	v_fma_f64 v[20:21], v[22:23], v[204:205], v[20:21]
	s_waitcnt vmcnt(0) lgkmcnt(12)
	v_mul_f64 v[22:23], v[30:31], v[198:199]
	v_fma_f64 v[22:23], v[28:29], v[196:197], -v[22:23]
	v_mul_f64 v[28:29], v[28:29], v[198:199]
	v_fma_f64 v[30:31], v[30:31], v[196:197], v[28:29]
	v_lshlrev_b32_e32 v28, 5, v36
	v_add_co_u32_e32 v36, vcc, s10, v28
	v_addc_co_u32_e32 v37, vcc, 0, v69, vcc
	v_add_co_u32_e32 v28, vcc, s11, v36
	v_addc_co_u32_e32 v29, vcc, 0, v37, vcc
	;; [unrolled: 2-line block ×3, first 2 shown]
	global_load_dwordx4 v[232:235], v[59:60], off offset:2560
	global_load_dwordx4 v[220:223], v[28:29], off offset:16
	s_waitcnt vmcnt(1) lgkmcnt(10)
	v_mul_f64 v[28:29], v[53:54], v[234:235]
	v_fma_f64 v[65:66], v[51:52], v[232:233], -v[28:29]
	v_mul_f64 v[28:29], v[51:52], v[234:235]
	v_fma_f64 v[53:54], v[53:54], v[232:233], v[28:29]
	s_waitcnt vmcnt(0) lgkmcnt(9)
	v_mul_f64 v[28:29], v[57:58], v[222:223]
	v_fma_f64 v[67:68], v[55:56], v[220:221], -v[28:29]
	v_mul_f64 v[28:29], v[55:56], v[222:223]
	v_fma_f64 v[57:58], v[57:58], v[220:221], v[28:29]
	v_lshlrev_b32_e32 v28, 5, v236
	v_add_co_u32_e32 v36, vcc, s10, v28
	v_addc_co_u32_e32 v37, vcc, 0, v69, vcc
	v_add_co_u32_e32 v28, vcc, s11, v36
	v_addc_co_u32_e32 v29, vcc, 0, v37, vcc
	;; [unrolled: 2-line block ×3, first 2 shown]
	global_load_dwordx4 v[136:139], v[51:52], off offset:2560
	global_load_dwordx4 v[236:239], v[28:29], off offset:16
	v_add_co_u32_e32 v39, vcc, s10, v39
	v_addc_co_u32_e32 v40, vcc, 0, v69, vcc
	s_waitcnt vmcnt(1) lgkmcnt(7)
	v_mul_f64 v[28:29], v[254:255], v[138:139]
	s_waitcnt vmcnt(0) lgkmcnt(6)
	v_mul_f64 v[51:52], v[250:251], v[238:239]
	v_fma_f64 v[81:82], v[252:253], v[136:137], -v[28:29]
	v_fma_f64 v[36:37], v[248:249], v[236:237], -v[51:52]
	v_mul_f64 v[51:52], v[248:249], v[238:239]
	v_mul_f64 v[28:29], v[252:253], v[138:139]
	v_fma_f64 v[105:106], v[250:251], v[236:237], v[51:52]
	v_add_co_u32_e32 v51, vcc, s11, v39
	v_addc_co_u32_e32 v52, vcc, 0, v40, vcc
	v_add_co_u32_e32 v55, vcc, s20, v39
	v_addc_co_u32_e32 v56, vcc, 0, v40, vcc
	v_fma_f64 v[28:29], v[254:255], v[136:137], v[28:29]
	global_load_dwordx4 v[128:131], v[55:56], off offset:2560
	global_load_dwordx4 v[252:255], v[51:52], off offset:16
	s_waitcnt vmcnt(1) lgkmcnt(4)
	v_mul_f64 v[51:52], v[18:19], v[130:131]
	v_fma_f64 v[49:50], v[16:17], v[128:129], -v[51:52]
	v_mul_f64 v[16:17], v[16:17], v[130:131]
	v_fma_f64 v[39:40], v[18:19], v[128:129], v[16:17]
	s_waitcnt vmcnt(0) lgkmcnt(3)
	v_mul_f64 v[16:17], v[2:3], v[254:255]
	v_fma_f64 v[51:52], v[0:1], v[252:253], -v[16:17]
	v_mul_f64 v[0:1], v[0:1], v[254:255]
	v_fma_f64 v[0:1], v[2:3], v[252:253], v[0:1]
	v_lshlrev_b32_e32 v2, 5, v70
	v_add_co_u32_e32 v16, vcc, s10, v2
	v_addc_co_u32_e32 v17, vcc, 0, v69, vcc
	v_add_co_u32_e32 v2, vcc, s11, v16
	v_addc_co_u32_e32 v3, vcc, 0, v17, vcc
	;; [unrolled: 2-line block ×3, first 2 shown]
	global_load_dwordx4 v[116:119], v[16:17], off offset:2560
	global_load_dwordx4 v[120:123], v[2:3], off offset:16
	s_movk_i32 s10, 0x7e90
	s_waitcnt vmcnt(1) lgkmcnt(1)
	v_mul_f64 v[2:3], v[6:7], v[118:119]
	v_fma_f64 v[73:74], v[4:5], v[116:117], -v[2:3]
	v_mul_f64 v[4:5], v[4:5], v[118:119]
	v_fma_f64 v[59:60], v[6:7], v[116:117], v[4:5]
	s_waitcnt vmcnt(0) lgkmcnt(0)
	v_mul_f64 v[4:5], v[10:11], v[122:123]
	v_add_f64 v[6:7], v[20:21], -v[30:31]
	v_fma_f64 v[79:80], v[8:9], v[120:121], -v[4:5]
	v_mul_f64 v[4:5], v[8:9], v[122:123]
	v_fma_f64 v[2:3], v[10:11], v[120:121], v[4:5]
	v_add_f64 v[4:5], v[41:42], v[63:64]
	v_add_f64 v[75:76], v[4:5], v[22:23]
	;; [unrolled: 1-line block ×3, first 2 shown]
	v_fma_f64 v[4:5], v[4:5], -0.5, v[41:42]
	v_fma_f64 v[61:62], v[6:7], s[4:5], v[4:5]
	v_fma_f64 v[69:70], v[6:7], s[2:3], v[4:5]
	v_add_f64 v[4:5], v[43:44], v[20:21]
	v_add_f64 v[6:7], v[63:64], -v[22:23]
	v_add_f64 v[77:78], v[4:5], v[30:31]
	v_add_f64 v[4:5], v[20:21], v[30:31]
	v_fma_f64 v[4:5], v[4:5], -0.5, v[43:44]
	v_fma_f64 v[63:64], v[6:7], s[2:3], v[4:5]
	v_fma_f64 v[71:72], v[6:7], s[4:5], v[4:5]
	v_add_f64 v[4:5], v[12:13], v[65:66]
	v_add_f64 v[6:7], v[53:54], -v[57:58]
	v_add_f64 v[41:42], v[4:5], v[67:68]
	v_add_f64 v[4:5], v[65:66], v[67:68]
	;; [unrolled: 7-line block ×5, first 2 shown]
	v_add_f64 v[28:29], v[73:74], -v[79:80]
	v_fma_f64 v[4:5], v[4:5], -0.5, v[26:27]
	v_fma_f64 v[26:27], v[6:7], s[2:3], v[4:5]
	v_fma_f64 v[18:19], v[6:7], s[4:5], v[4:5]
	v_add_f64 v[4:5], v[32:33], v[49:50]
	v_add_f64 v[6:7], v[39:40], -v[0:1]
	v_add_f64 v[12:13], v[4:5], v[51:52]
	v_add_f64 v[4:5], v[49:50], v[51:52]
	v_fma_f64 v[4:5], v[4:5], -0.5, v[32:33]
	v_fma_f64 v[32:33], v[6:7], s[4:5], v[4:5]
	v_fma_f64 v[8:9], v[6:7], s[2:3], v[4:5]
	v_add_f64 v[4:5], v[34:35], v[39:40]
	v_add_f64 v[6:7], v[59:60], -v[2:3]
	v_add_f64 v[14:15], v[4:5], v[0:1]
	v_add_f64 v[0:1], v[39:40], v[0:1]
	v_add_f64 v[4:5], v[49:50], -v[51:52]
	v_fma_f64 v[0:1], v[0:1], -0.5, v[34:35]
	v_fma_f64 v[34:35], v[4:5], s[2:3], v[0:1]
	v_fma_f64 v[10:11], v[4:5], s[4:5], v[0:1]
	v_add_f64 v[0:1], v[45:46], v[73:74]
	v_add_f64 v[4:5], v[0:1], v[79:80]
	;; [unrolled: 1-line block ×3, first 2 shown]
	v_fma_f64 v[0:1], v[0:1], -0.5, v[45:46]
	v_fma_f64 v[45:46], v[6:7], s[4:5], v[0:1]
	v_fma_f64 v[0:1], v[6:7], s[2:3], v[0:1]
	v_add_f64 v[6:7], v[47:48], v[59:60]
	v_add_f64 v[6:7], v[6:7], v[2:3]
	;; [unrolled: 1-line block ×3, first 2 shown]
	v_fma_f64 v[2:3], v[2:3], -0.5, v[47:48]
	v_fma_f64 v[47:48], v[28:29], s[2:3], v[2:3]
	v_fma_f64 v[2:3], v[28:29], s[4:5], v[2:3]
	ds_write_b128 v38, v[75:78]
	ds_write_b128 v38, v[61:64] offset:10800
	ds_write_b128 v38, v[69:72] offset:21600
	;; [unrolled: 1-line block ×14, first 2 shown]
	s_waitcnt lgkmcnt(0)
	s_barrier
	ds_read_b128 v[0:3], v38
	buffer_load_dword v4, off, s[24:27], 0 offset:532 ; 4-byte Folded Reload
	buffer_load_dword v5, off, s[24:27], 0 offset:536 ; 4-byte Folded Reload
	v_add_co_u32_e32 v14, vcc, s10, v107
	v_addc_co_u32_e32 v15, vcc, 0, v96, vcc
	s_mov_b32 s10, 0xa000
	s_waitcnt vmcnt(0)
	global_load_dwordx4 v[4:7], v[4:5], off offset:3728
	s_waitcnt vmcnt(0) lgkmcnt(0)
	v_mul_f64 v[8:9], v[2:3], v[6:7]
	v_fma_f64 v[8:9], v[0:1], v[4:5], -v[8:9]
	v_mul_f64 v[0:1], v[0:1], v[6:7]
	v_fma_f64 v[10:11], v[2:3], v[4:5], v[0:1]
	v_add_co_u32_e32 v0, vcc, s10, v107
	v_addc_co_u32_e32 v1, vcc, 0, v96, vcc
	ds_read_b128 v[2:5], v38 offset:10800
	s_mov_b32 s10, 0xd000
	v_add_co_u32_e32 v16, vcc, s10, v107
	ds_write_b128 v38, v[8:11]
	global_load_dwordx4 v[6:9], v[0:1], off offset:2240
	v_addc_co_u32_e32 v17, vcc, 0, v96, vcc
	s_mov_b32 s10, 0xb000
	s_waitcnt vmcnt(0) lgkmcnt(1)
	v_mul_f64 v[10:11], v[4:5], v[8:9]
	v_fma_f64 v[10:11], v[2:3], v[6:7], -v[10:11]
	v_mul_f64 v[2:3], v[2:3], v[8:9]
	v_fma_f64 v[12:13], v[4:5], v[6:7], v[2:3]
	global_load_dwordx4 v[6:9], v[16:17], off offset:752
	ds_read_b128 v[2:5], v38 offset:21600
	ds_write_b128 v38, v[10:13] offset:10800
	s_waitcnt vmcnt(0) lgkmcnt(1)
	v_mul_f64 v[10:11], v[4:5], v[8:9]
	v_fma_f64 v[10:11], v[2:3], v[6:7], -v[10:11]
	v_mul_f64 v[2:3], v[2:3], v[8:9]
	v_fma_f64 v[12:13], v[4:5], v[6:7], v[2:3]
	global_load_dwordx4 v[6:9], v[14:15], off offset:2160
	ds_read_b128 v[2:5], v38 offset:2160
	v_add_co_u32_e32 v14, vcc, s10, v107
	v_addc_co_u32_e32 v15, vcc, 0, v96, vcc
	s_mov_b32 s10, 0x8000
	ds_write_b128 v38, v[10:13] offset:21600
	s_waitcnt vmcnt(0) lgkmcnt(1)
	v_mul_f64 v[10:11], v[4:5], v[8:9]
	v_fma_f64 v[10:11], v[2:3], v[6:7], -v[10:11]
	v_mul_f64 v[2:3], v[2:3], v[8:9]
	v_fma_f64 v[12:13], v[4:5], v[6:7], v[2:3]
	global_load_dwordx4 v[6:9], v[14:15], off offset:304
	ds_read_b128 v[2:5], v38 offset:12960
	ds_write_b128 v38, v[10:13] offset:2160
	s_waitcnt vmcnt(0) lgkmcnt(1)
	v_mul_f64 v[10:11], v[4:5], v[8:9]
	v_fma_f64 v[10:11], v[2:3], v[6:7], -v[10:11]
	v_mul_f64 v[2:3], v[2:3], v[8:9]
	v_fma_f64 v[12:13], v[4:5], v[6:7], v[2:3]
	global_load_dwordx4 v[6:9], v[16:17], off offset:2912
	ds_read_b128 v[2:5], v38 offset:23760
	ds_write_b128 v38, v[10:13] offset:12960
	s_waitcnt vmcnt(0) lgkmcnt(1)
	v_mul_f64 v[10:11], v[4:5], v[8:9]
	v_fma_f64 v[10:11], v[2:3], v[6:7], -v[10:11]
	v_mul_f64 v[2:3], v[2:3], v[8:9]
	v_fma_f64 v[12:13], v[4:5], v[6:7], v[2:3]
	v_add_co_u32_e32 v6, vcc, s10, v107
	v_addc_co_u32_e32 v7, vcc, 0, v96, vcc
	global_load_dwordx4 v[6:9], v[6:7], off offset:3952
	ds_read_b128 v[2:5], v38 offset:4320
	s_mov_b32 s10, 0xe000
	ds_write_b128 v38, v[10:13] offset:23760
	v_add_co_u32_e32 v16, vcc, s10, v107
	v_addc_co_u32_e32 v17, vcc, 0, v96, vcc
	s_mov_b32 s10, 0x9000
	s_waitcnt vmcnt(0) lgkmcnt(1)
	v_mul_f64 v[10:11], v[4:5], v[8:9]
	v_fma_f64 v[10:11], v[2:3], v[6:7], -v[10:11]
	v_mul_f64 v[2:3], v[2:3], v[8:9]
	v_fma_f64 v[12:13], v[4:5], v[6:7], v[2:3]
	global_load_dwordx4 v[6:9], v[14:15], off offset:2464
	ds_read_b128 v[2:5], v38 offset:15120
	ds_write_b128 v38, v[10:13] offset:4320
	s_waitcnt vmcnt(0) lgkmcnt(1)
	v_mul_f64 v[10:11], v[4:5], v[8:9]
	v_fma_f64 v[10:11], v[2:3], v[6:7], -v[10:11]
	v_mul_f64 v[2:3], v[2:3], v[8:9]
	v_fma_f64 v[12:13], v[4:5], v[6:7], v[2:3]
	global_load_dwordx4 v[6:9], v[16:17], off offset:976
	ds_read_b128 v[2:5], v38 offset:25920
	ds_write_b128 v38, v[10:13] offset:15120
	s_waitcnt vmcnt(0) lgkmcnt(1)
	v_mul_f64 v[10:11], v[4:5], v[8:9]
	v_fma_f64 v[10:11], v[2:3], v[6:7], -v[10:11]
	v_mul_f64 v[2:3], v[2:3], v[8:9]
	v_fma_f64 v[12:13], v[4:5], v[6:7], v[2:3]
	v_add_co_u32_e32 v6, vcc, s10, v107
	v_addc_co_u32_e32 v7, vcc, 0, v96, vcc
	global_load_dwordx4 v[6:9], v[6:7], off offset:2016
	ds_read_b128 v[2:5], v38 offset:6480
	s_mov_b32 s10, 0xc000
	ds_write_b128 v38, v[10:13] offset:25920
	s_waitcnt vmcnt(0) lgkmcnt(1)
	v_mul_f64 v[10:11], v[4:5], v[8:9]
	v_fma_f64 v[10:11], v[2:3], v[6:7], -v[10:11]
	v_mul_f64 v[2:3], v[2:3], v[8:9]
	v_fma_f64 v[12:13], v[4:5], v[6:7], v[2:3]
	v_add_co_u32_e32 v2, vcc, s10, v107
	v_addc_co_u32_e32 v3, vcc, 0, v96, vcc
	ds_read_b128 v[4:7], v38 offset:17280
	s_mov_b32 s10, 0xf000
	ds_write_b128 v38, v[10:13] offset:6480
	global_load_dwordx4 v[8:11], v[2:3], off offset:528
	s_waitcnt vmcnt(0) lgkmcnt(1)
	v_mul_f64 v[12:13], v[6:7], v[10:11]
	v_fma_f64 v[12:13], v[4:5], v[8:9], -v[12:13]
	v_mul_f64 v[4:5], v[4:5], v[10:11]
	v_fma_f64 v[14:15], v[6:7], v[8:9], v[4:5]
	global_load_dwordx4 v[8:11], v[16:17], off offset:3136
	ds_read_b128 v[4:7], v38 offset:28080
	ds_write_b128 v38, v[12:15] offset:17280
	s_waitcnt vmcnt(0) lgkmcnt(1)
	v_mul_f64 v[12:13], v[6:7], v[10:11]
	v_fma_f64 v[12:13], v[4:5], v[8:9], -v[12:13]
	v_mul_f64 v[4:5], v[4:5], v[10:11]
	v_fma_f64 v[14:15], v[6:7], v[8:9], v[4:5]
	global_load_dwordx4 v[8:11], v[0:1], off offset:80
	ds_read_b128 v[4:7], v38 offset:8640
	ds_write_b128 v38, v[12:15] offset:28080
	;; [unrolled: 8-line block ×3, first 2 shown]
	s_waitcnt vmcnt(0) lgkmcnt(1)
	v_mul_f64 v[8:9], v[6:7], v[2:3]
	v_mul_f64 v[2:3], v[4:5], v[2:3]
	v_fma_f64 v[8:9], v[4:5], v[0:1], -v[8:9]
	v_add_co_u32_e32 v4, vcc, s10, v107
	v_addc_co_u32_e32 v5, vcc, 0, v96, vcc
	v_fma_f64 v[10:11], v[6:7], v[0:1], v[2:3]
	global_load_dwordx4 v[4:7], v[4:5], off offset:1200
	ds_read_b128 v[0:3], v38 offset:30240
	ds_write_b128 v38, v[8:11] offset:19440
	s_waitcnt vmcnt(0) lgkmcnt(1)
	v_mul_f64 v[8:9], v[2:3], v[6:7]
	v_fma_f64 v[8:9], v[0:1], v[4:5], -v[8:9]
	v_mul_f64 v[0:1], v[0:1], v[6:7]
	v_fma_f64 v[10:11], v[2:3], v[4:5], v[0:1]
	ds_write_b128 v38, v[8:11] offset:30240
	s_waitcnt lgkmcnt(0)
	s_barrier
	ds_read_b128 v[0:3], v38
	ds_read_b128 v[4:7], v38 offset:10800
	ds_read_b128 v[8:11], v38 offset:21600
	;; [unrolled: 1-line block ×14, first 2 shown]
	s_waitcnt lgkmcnt(13)
	v_add_f64 v[36:37], v[0:1], v[4:5]
	s_waitcnt lgkmcnt(12)
	v_add_f64 v[39:40], v[6:7], -v[10:11]
	s_waitcnt lgkmcnt(0)
	s_barrier
	v_add_f64 v[61:62], v[36:37], v[8:9]
	v_add_f64 v[36:37], v[4:5], v[8:9]
	v_add_f64 v[4:5], v[4:5], -v[8:9]
	v_fma_f64 v[36:37], v[36:37], -0.5, v[0:1]
	v_fma_f64 v[0:1], v[39:40], s[2:3], v[36:37]
	v_fma_f64 v[65:66], v[39:40], s[4:5], v[36:37]
	v_add_f64 v[36:37], v[2:3], v[6:7]
	v_add_f64 v[6:7], v[6:7], v[10:11]
	v_add_f64 v[39:40], v[45:46], -v[49:50]
	v_add_f64 v[63:64], v[36:37], v[10:11]
	v_fma_f64 v[6:7], v[6:7], -0.5, v[2:3]
	v_add_f64 v[10:11], v[18:19], -v[22:23]
	v_fma_f64 v[2:3], v[4:5], s[4:5], v[6:7]
	v_fma_f64 v[67:68], v[4:5], s[2:3], v[6:7]
	v_add_f64 v[6:7], v[16:17], v[20:21]
	v_add_f64 v[4:5], v[12:13], v[16:17]
	v_add_f64 v[16:17], v[16:17], -v[20:21]
	v_fma_f64 v[6:7], v[6:7], -0.5, v[12:13]
	v_add_f64 v[4:5], v[4:5], v[20:21]
	v_fma_f64 v[8:9], v[10:11], s[2:3], v[6:7]
	v_fma_f64 v[12:13], v[10:11], s[4:5], v[6:7]
	v_add_f64 v[6:7], v[14:15], v[18:19]
	v_add_f64 v[10:11], v[18:19], v[22:23]
	;; [unrolled: 1-line block ×4, first 2 shown]
	v_fma_f64 v[14:15], v[10:11], -0.5, v[14:15]
	v_fma_f64 v[18:19], v[18:19], -0.5, v[24:25]
	v_add_f64 v[22:23], v[30:31], -v[34:35]
	v_fma_f64 v[10:11], v[16:17], s[4:5], v[14:15]
	v_fma_f64 v[14:15], v[16:17], s[2:3], v[14:15]
	v_add_f64 v[16:17], v[24:25], v[28:29]
	v_fma_f64 v[20:21], v[22:23], s[2:3], v[18:19]
	v_fma_f64 v[24:25], v[22:23], s[4:5], v[18:19]
	v_add_f64 v[18:19], v[26:27], v[30:31]
	v_add_f64 v[22:23], v[30:31], v[34:35]
	;; [unrolled: 1-line block ×3, first 2 shown]
	v_add_f64 v[28:29], v[28:29], -v[32:33]
	v_add_f64 v[16:17], v[16:17], v[32:33]
	v_add_f64 v[18:19], v[18:19], v[34:35]
	v_fma_f64 v[26:27], v[22:23], -0.5, v[26:27]
	v_fma_f64 v[30:31], v[30:31], -0.5, v[41:42]
	v_add_f64 v[34:35], v[47:48], -v[51:52]
	v_fma_f64 v[22:23], v[28:29], s[4:5], v[26:27]
	v_fma_f64 v[26:27], v[28:29], s[2:3], v[26:27]
	v_add_f64 v[28:29], v[41:42], v[45:46]
	v_fma_f64 v[32:33], v[34:35], s[2:3], v[30:31]
	v_fma_f64 v[41:42], v[34:35], s[4:5], v[30:31]
	v_add_f64 v[34:35], v[47:48], v[51:52]
	v_add_f64 v[30:31], v[43:44], v[47:48]
	;; [unrolled: 1-line block ×3, first 2 shown]
	v_fma_f64 v[36:37], v[34:35], -0.5, v[43:44]
	v_add_f64 v[30:31], v[30:31], v[51:52]
	v_fma_f64 v[34:35], v[39:40], s[4:5], v[36:37]
	v_fma_f64 v[43:44], v[39:40], s[2:3], v[36:37]
	v_add_f64 v[36:37], v[53:54], v[57:58]
	v_add_f64 v[39:40], v[59:60], -v[250:251]
	v_add_f64 v[45:46], v[36:37], v[248:249]
	v_add_f64 v[36:37], v[57:58], v[248:249]
	v_fma_f64 v[36:37], v[36:37], -0.5, v[53:54]
	v_fma_f64 v[49:50], v[39:40], s[2:3], v[36:37]
	v_fma_f64 v[53:54], v[39:40], s[4:5], v[36:37]
	v_add_f64 v[36:37], v[55:56], v[59:60]
	v_add_f64 v[39:40], v[57:58], -v[248:249]
	v_add_f64 v[47:48], v[36:37], v[250:251]
	v_add_f64 v[36:37], v[59:60], v[250:251]
	v_fma_f64 v[36:37], v[36:37], -0.5, v[55:56]
	v_fma_f64 v[51:52], v[39:40], s[4:5], v[36:37]
	v_fma_f64 v[55:56], v[39:40], s[2:3], v[36:37]
	buffer_load_dword v36, off, s[24:27], 0 offset:300 ; 4-byte Folded Reload
	s_waitcnt vmcnt(0)
	ds_write_b128 v36, v[61:64]
	ds_write_b128 v36, v[0:3] offset:16
	ds_write_b128 v36, v[65:68] offset:32
	buffer_load_dword v0, off, s[24:27], 0 offset:296 ; 4-byte Folded Reload
	s_waitcnt vmcnt(0)
	ds_write_b128 v0, v[4:7]
	ds_write_b128 v0, v[8:11] offset:16
	ds_write_b128 v0, v[12:15] offset:32
	;; [unrolled: 5-line block ×5, first 2 shown]
	s_waitcnt lgkmcnt(0)
	s_barrier
	ds_read_b128 v[0:3], v38
	ds_read_b128 v[4:7], v38 offset:10800
	ds_read_b128 v[8:11], v38 offset:21600
	;; [unrolled: 1-line block ×14, first 2 shown]
	buffer_load_dword v65, off, s[24:27], 0 offset:272 ; 4-byte Folded Reload
	buffer_load_dword v66, off, s[24:27], 0 offset:276 ; 4-byte Folded Reload
	;; [unrolled: 1-line block ×4, first 2 shown]
	s_waitcnt vmcnt(0) lgkmcnt(13)
	v_mul_f64 v[36:37], v[67:68], v[6:7]
	v_fma_f64 v[36:37], v[65:66], v[4:5], v[36:37]
	v_mul_f64 v[4:5], v[67:68], v[4:5]
	buffer_load_dword v67, off, s[24:27], 0 offset:256 ; 4-byte Folded Reload
	buffer_load_dword v68, off, s[24:27], 0 offset:260 ; 4-byte Folded Reload
	;; [unrolled: 1-line block ×4, first 2 shown]
	v_fma_f64 v[39:40], v[65:66], v[6:7], -v[4:5]
	s_waitcnt vmcnt(0) lgkmcnt(12)
	v_mul_f64 v[4:5], v[69:70], v[10:11]
	v_fma_f64 v[65:66], v[67:68], v[8:9], v[4:5]
	v_mul_f64 v[4:5], v[69:70], v[8:9]
	buffer_load_dword v6, off, s[24:27], 0 offset:320 ; 4-byte Folded Reload
	buffer_load_dword v7, off, s[24:27], 0 offset:324 ; 4-byte Folded Reload
	;; [unrolled: 1-line block ×4, first 2 shown]
	v_fma_f64 v[10:11], v[67:68], v[10:11], -v[4:5]
	s_waitcnt vmcnt(0) lgkmcnt(10)
	v_mul_f64 v[4:5], v[8:9], v[18:19]
	v_fma_f64 v[67:68], v[6:7], v[16:17], v[4:5]
	v_mul_f64 v[4:5], v[8:9], v[16:17]
	v_add_f64 v[16:17], v[36:37], -v[65:66]
	v_fma_f64 v[69:70], v[6:7], v[18:19], -v[4:5]
	buffer_load_dword v6, off, s[24:27], 0 offset:304 ; 4-byte Folded Reload
	buffer_load_dword v7, off, s[24:27], 0 offset:308 ; 4-byte Folded Reload
	;; [unrolled: 1-line block ×4, first 2 shown]
	s_waitcnt vmcnt(0) lgkmcnt(9)
	v_mul_f64 v[4:5], v[8:9], v[22:23]
	v_fma_f64 v[71:72], v[6:7], v[20:21], v[4:5]
	v_mul_f64 v[4:5], v[8:9], v[20:21]
	v_add_f64 v[18:19], v[67:68], v[71:72]
	v_fma_f64 v[22:23], v[6:7], v[22:23], -v[4:5]
	buffer_load_dword v6, off, s[24:27], 0 offset:352 ; 4-byte Folded Reload
	buffer_load_dword v7, off, s[24:27], 0 offset:356 ; 4-byte Folded Reload
	buffer_load_dword v8, off, s[24:27], 0 offset:360 ; 4-byte Folded Reload
	buffer_load_dword v9, off, s[24:27], 0 offset:364 ; 4-byte Folded Reload
	v_fma_f64 v[18:19], v[18:19], -0.5, v[12:13]
	v_add_f64 v[20:21], v[69:70], -v[22:23]
	s_waitcnt vmcnt(0) lgkmcnt(7)
	v_mul_f64 v[4:5], v[8:9], v[30:31]
	v_fma_f64 v[73:74], v[6:7], v[28:29], v[4:5]
	v_mul_f64 v[4:5], v[8:9], v[28:29]
	v_add_f64 v[28:29], v[67:68], -v[71:72]
	v_fma_f64 v[75:76], v[6:7], v[30:31], -v[4:5]
	buffer_load_dword v6, off, s[24:27], 0 offset:336 ; 4-byte Folded Reload
	buffer_load_dword v7, off, s[24:27], 0 offset:340 ; 4-byte Folded Reload
	;; [unrolled: 1-line block ×4, first 2 shown]
	s_waitcnt vmcnt(0) lgkmcnt(6)
	v_mul_f64 v[4:5], v[8:9], v[34:35]
	v_fma_f64 v[77:78], v[6:7], v[32:33], v[4:5]
	v_mul_f64 v[4:5], v[8:9], v[32:33]
	v_add_f64 v[30:31], v[73:74], v[77:78]
	v_fma_f64 v[34:35], v[6:7], v[34:35], -v[4:5]
	buffer_load_dword v6, off, s[24:27], 0 offset:384 ; 4-byte Folded Reload
	buffer_load_dword v7, off, s[24:27], 0 offset:388 ; 4-byte Folded Reload
	;; [unrolled: 1-line block ×4, first 2 shown]
	v_fma_f64 v[30:31], v[30:31], -0.5, v[24:25]
	v_add_f64 v[32:33], v[75:76], -v[34:35]
	s_waitcnt vmcnt(0) lgkmcnt(4)
	v_mul_f64 v[4:5], v[8:9], v[47:48]
	v_fma_f64 v[79:80], v[6:7], v[45:46], v[4:5]
	v_mul_f64 v[4:5], v[8:9], v[45:46]
	v_fma_f64 v[81:82], v[6:7], v[47:48], -v[4:5]
	buffer_load_dword v6, off, s[24:27], 0 offset:368 ; 4-byte Folded Reload
	buffer_load_dword v7, off, s[24:27], 0 offset:372 ; 4-byte Folded Reload
	;; [unrolled: 1-line block ×4, first 2 shown]
	s_waitcnt vmcnt(0) lgkmcnt(3)
	v_mul_f64 v[4:5], v[8:9], v[51:52]
	v_fma_f64 v[105:106], v[6:7], v[49:50], v[4:5]
	v_mul_f64 v[4:5], v[8:9], v[49:50]
	v_fma_f64 v[51:52], v[6:7], v[51:52], -v[4:5]
	buffer_load_dword v6, off, s[24:27], 0 offset:472 ; 4-byte Folded Reload
	buffer_load_dword v7, off, s[24:27], 0 offset:476 ; 4-byte Folded Reload
	;; [unrolled: 1-line block ×4, first 2 shown]
	s_waitcnt lgkmcnt(1)
	v_mul_f64 v[4:5], v[114:115], v[59:60]
	s_waitcnt vmcnt(0) lgkmcnt(0)
	s_barrier
	v_fma_f64 v[248:249], v[112:113], v[57:58], v[4:5]
	v_mul_f64 v[4:5], v[114:115], v[57:58]
	v_fma_f64 v[112:113], v[112:113], v[59:60], -v[4:5]
	v_mul_f64 v[4:5], v[8:9], v[63:64]
	v_fma_f64 v[114:115], v[6:7], v[61:62], v[4:5]
	v_mul_f64 v[4:5], v[8:9], v[61:62]
	v_add_f64 v[8:9], v[39:40], -v[10:11]
	v_fma_f64 v[63:64], v[6:7], v[63:64], -v[4:5]
	v_add_f64 v[6:7], v[36:37], v[65:66]
	v_add_f64 v[4:5], v[0:1], v[36:37]
	v_add_f64 v[36:37], v[73:74], -v[77:78]
	v_fma_f64 v[6:7], v[6:7], -0.5, v[0:1]
	v_add_f64 v[4:5], v[4:5], v[65:66]
	v_fma_f64 v[0:1], v[8:9], s[2:3], v[6:7]
	v_fma_f64 v[8:9], v[8:9], s[4:5], v[6:7]
	v_add_f64 v[6:7], v[2:3], v[39:40]
	v_add_f64 v[6:7], v[6:7], v[10:11]
	;; [unrolled: 1-line block ×3, first 2 shown]
	v_add_f64 v[39:40], v[81:82], -v[51:52]
	v_fma_f64 v[10:11], v[10:11], -0.5, v[2:3]
	v_fma_f64 v[2:3], v[16:17], s[4:5], v[10:11]
	v_fma_f64 v[10:11], v[16:17], s[2:3], v[10:11]
	v_add_f64 v[16:17], v[12:13], v[67:68]
	v_fma_f64 v[12:13], v[20:21], s[2:3], v[18:19]
	v_fma_f64 v[20:21], v[20:21], s[4:5], v[18:19]
	v_add_f64 v[18:19], v[14:15], v[69:70]
	v_add_f64 v[16:17], v[16:17], v[71:72]
	;; [unrolled: 1-line block ×4, first 2 shown]
	v_fma_f64 v[22:23], v[22:23], -0.5, v[14:15]
	v_fma_f64 v[14:15], v[28:29], s[4:5], v[22:23]
	v_fma_f64 v[22:23], v[28:29], s[2:3], v[22:23]
	v_add_f64 v[28:29], v[24:25], v[73:74]
	v_fma_f64 v[24:25], v[32:33], s[2:3], v[30:31]
	v_fma_f64 v[32:33], v[32:33], s[4:5], v[30:31]
	v_add_f64 v[30:31], v[26:27], v[75:76]
	v_add_f64 v[28:29], v[28:29], v[77:78]
	;; [unrolled: 1-line block ×4, first 2 shown]
	v_fma_f64 v[34:35], v[34:35], -0.5, v[26:27]
	v_fma_f64 v[26:27], v[36:37], s[4:5], v[34:35]
	v_fma_f64 v[34:35], v[36:37], s[2:3], v[34:35]
	v_add_f64 v[36:37], v[41:42], v[79:80]
	v_add_f64 v[45:46], v[36:37], v[105:106]
	;; [unrolled: 1-line block ×3, first 2 shown]
	v_fma_f64 v[36:37], v[36:37], -0.5, v[41:42]
	v_fma_f64 v[41:42], v[39:40], s[2:3], v[36:37]
	v_fma_f64 v[49:50], v[39:40], s[4:5], v[36:37]
	v_add_f64 v[36:37], v[43:44], v[81:82]
	v_add_f64 v[39:40], v[79:80], -v[105:106]
	v_add_f64 v[47:48], v[36:37], v[51:52]
	v_add_f64 v[36:37], v[81:82], v[51:52]
	v_fma_f64 v[36:37], v[36:37], -0.5, v[43:44]
	v_fma_f64 v[43:44], v[39:40], s[4:5], v[36:37]
	v_fma_f64 v[51:52], v[39:40], s[2:3], v[36:37]
	v_add_f64 v[36:37], v[53:54], v[248:249]
	v_add_f64 v[39:40], v[112:113], -v[63:64]
	v_add_f64 v[57:58], v[36:37], v[114:115]
	v_add_f64 v[36:37], v[248:249], v[114:115]
	;; [unrolled: 7-line block ×3, first 2 shown]
	v_fma_f64 v[36:37], v[36:37], -0.5, v[55:56]
	v_fma_f64 v[55:56], v[39:40], s[4:5], v[36:37]
	v_fma_f64 v[63:64], v[39:40], s[2:3], v[36:37]
	buffer_load_dword v36, off, s[24:27], 0 offset:492 ; 4-byte Folded Reload
	s_waitcnt vmcnt(0)
	ds_write_b128 v36, v[4:7]
	ds_write_b128 v36, v[0:3] offset:48
	ds_write_b128 v36, v[8:11] offset:96
	buffer_load_dword v0, off, s[24:27], 0 offset:488 ; 4-byte Folded Reload
	s_waitcnt vmcnt(0)
	ds_write_b128 v0, v[16:19]
	ds_write_b128 v0, v[12:15] offset:48
	ds_write_b128 v0, v[20:23] offset:96
	;; [unrolled: 5-line block ×4, first 2 shown]
	ds_write_b128 v83, v[57:60]
	ds_write_b128 v83, v[53:56] offset:48
	ds_write_b128 v83, v[61:64] offset:96
	s_waitcnt lgkmcnt(0)
	s_barrier
	ds_read_b128 v[12:15], v38
	ds_read_b128 v[4:7], v38 offset:6480
	ds_read_b128 v[8:11], v38 offset:12960
	;; [unrolled: 1-line block ×14, first 2 shown]
	buffer_load_dword v61, off, s[24:27], 0 offset:448 ; 4-byte Folded Reload
	buffer_load_dword v62, off, s[24:27], 0 offset:452 ; 4-byte Folded Reload
	buffer_load_dword v63, off, s[24:27], 0 offset:456 ; 4-byte Folded Reload
	buffer_load_dword v64, off, s[24:27], 0 offset:460 ; 4-byte Folded Reload
	s_waitcnt vmcnt(0) lgkmcnt(13)
	v_mul_f64 v[36:37], v[63:64], v[6:7]
	v_fma_f64 v[36:37], v[61:62], v[4:5], v[36:37]
	v_mul_f64 v[4:5], v[63:64], v[4:5]
	v_fma_f64 v[39:40], v[61:62], v[6:7], -v[4:5]
	buffer_load_dword v61, off, s[24:27], 0 offset:432 ; 4-byte Folded Reload
	buffer_load_dword v62, off, s[24:27], 0 offset:436 ; 4-byte Folded Reload
	;; [unrolled: 1-line block ×4, first 2 shown]
	s_waitcnt vmcnt(0) lgkmcnt(12)
	v_mul_f64 v[4:5], v[63:64], v[10:11]
	v_fma_f64 v[66:67], v[61:62], v[8:9], v[4:5]
	v_mul_f64 v[4:5], v[63:64], v[8:9]
	buffer_load_dword v6, off, s[24:27], 0 offset:416 ; 4-byte Folded Reload
	buffer_load_dword v7, off, s[24:27], 0 offset:420 ; 4-byte Folded Reload
	;; [unrolled: 1-line block ×4, first 2 shown]
	v_fma_f64 v[74:75], v[61:62], v[10:11], -v[4:5]
	s_waitcnt lgkmcnt(0)
	v_mul_f64 v[10:11], v[90:91], v[59:60]
	v_add_f64 v[62:63], v[36:37], -v[66:67]
	s_waitcnt vmcnt(0)
	v_mul_f64 v[4:5], v[8:9], v[18:19]
	v_fma_f64 v[70:71], v[6:7], v[16:17], v[4:5]
	v_mul_f64 v[4:5], v[8:9], v[16:17]
	v_fma_f64 v[16:17], v[6:7], v[18:19], -v[4:5]
	buffer_load_dword v6, off, s[24:27], 0 offset:400 ; 4-byte Folded Reload
	buffer_load_dword v7, off, s[24:27], 0 offset:404 ; 4-byte Folded Reload
	buffer_load_dword v8, off, s[24:27], 0 offset:408 ; 4-byte Folded Reload
	buffer_load_dword v9, off, s[24:27], 0 offset:412 ; 4-byte Folded Reload
	s_waitcnt vmcnt(0)
	s_barrier
	v_mul_f64 v[4:5], v[8:9], v[22:23]
	v_fma_f64 v[18:19], v[6:7], v[20:21], v[4:5]
	v_mul_f64 v[4:5], v[8:9], v[20:21]
	v_mul_f64 v[8:9], v[86:87], v[55:56]
	v_add_f64 v[64:65], v[18:19], -v[70:71]
	v_fma_f64 v[20:21], v[6:7], v[22:23], -v[4:5]
	v_mul_f64 v[4:5], v[94:95], v[26:27]
	v_mul_f64 v[6:7], v[142:143], v[51:52]
	v_add_f64 v[62:63], v[62:63], v[64:65]
	v_fma_f64 v[22:23], v[92:93], v[24:25], v[4:5]
	v_mul_f64 v[4:5], v[94:95], v[24:25]
	v_fma_f64 v[24:25], v[92:93], v[26:27], -v[4:5]
	v_mul_f64 v[4:5], v[99:100], v[30:31]
	v_fma_f64 v[26:27], v[97:98], v[28:29], v[4:5]
	v_mul_f64 v[4:5], v[99:100], v[28:29]
	v_fma_f64 v[28:29], v[97:98], v[30:31], -v[4:5]
	v_mul_f64 v[4:5], v[103:104], v[34:35]
	v_fma_f64 v[30:31], v[101:102], v[32:33], v[4:5]
	v_mul_f64 v[4:5], v[103:104], v[32:33]
	v_fma_f64 v[32:33], v[101:102], v[34:35], -v[4:5]
	v_mul_f64 v[4:5], v[110:111], v[43:44]
	v_fma_f64 v[34:35], v[108:109], v[41:42], v[4:5]
	v_mul_f64 v[4:5], v[110:111], v[41:42]
	v_fma_f64 v[41:42], v[108:109], v[43:44], -v[4:5]
	v_mul_f64 v[4:5], v[146:147], v[47:48]
	v_fma_f64 v[43:44], v[144:145], v[45:46], v[4:5]
	v_mul_f64 v[4:5], v[146:147], v[45:46]
	v_fma_f64 v[45:46], v[140:141], v[49:50], v[6:7]
	v_mul_f64 v[6:7], v[142:143], v[49:50]
	;; [unrolled: 2-line block ×3, first 2 shown]
	v_add_f64 v[57:58], v[74:75], -v[16:17]
	v_fma_f64 v[4:5], v[144:145], v[47:48], -v[4:5]
	v_fma_f64 v[47:48], v[84:85], v[53:54], v[8:9]
	v_fma_f64 v[6:7], v[140:141], v[51:52], -v[6:7]
	v_add_f64 v[51:52], v[12:13], v[36:37]
	v_fma_f64 v[10:11], v[88:89], v[59:60], -v[10:11]
	v_mul_f64 v[8:9], v[86:87], v[53:54]
	v_add_f64 v[53:54], v[39:40], -v[20:21]
	v_add_f64 v[51:52], v[51:52], v[66:67]
	v_fma_f64 v[8:9], v[84:85], v[55:56], -v[8:9]
	v_add_f64 v[51:52], v[51:52], v[70:71]
	v_add_f64 v[60:61], v[51:52], v[18:19]
	;; [unrolled: 1-line block ×3, first 2 shown]
	v_fma_f64 v[51:52], v[51:52], -0.5, v[12:13]
	v_fma_f64 v[55:56], v[53:54], s[18:19], v[51:52]
	v_fma_f64 v[51:52], v[53:54], s[8:9], v[51:52]
	;; [unrolled: 1-line block ×6, first 2 shown]
	v_add_f64 v[51:52], v[36:37], v[18:19]
	v_add_f64 v[55:56], v[66:67], -v[36:37]
	v_add_f64 v[62:63], v[70:71], -v[18:19]
	;; [unrolled: 1-line block ×3, first 2 shown]
	v_fma_f64 v[12:13], v[51:52], -0.5, v[12:13]
	v_add_f64 v[55:56], v[55:56], v[62:63]
	v_fma_f64 v[51:52], v[57:58], s[8:9], v[12:13]
	v_fma_f64 v[12:13], v[57:58], s[18:19], v[12:13]
	;; [unrolled: 1-line block ×4, first 2 shown]
	v_add_f64 v[53:54], v[39:40], -v[74:75]
	v_fma_f64 v[76:77], v[55:56], s[6:7], v[51:52]
	v_fma_f64 v[72:73], v[55:56], s[6:7], v[12:13]
	v_add_f64 v[12:13], v[14:15], v[39:40]
	v_add_f64 v[51:52], v[66:67], -v[70:71]
	v_add_f64 v[55:56], v[20:21], -v[16:17]
	v_add_f64 v[12:13], v[12:13], v[74:75]
	v_add_f64 v[53:54], v[53:54], v[55:56]
	;; [unrolled: 1-line block ×5, first 2 shown]
	v_add_f64 v[16:17], v[16:17], -v[20:21]
	v_fma_f64 v[12:13], v[12:13], -0.5, v[14:15]
	v_fma_f64 v[36:37], v[18:19], s[8:9], v[12:13]
	v_fma_f64 v[12:13], v[18:19], s[18:19], v[12:13]
	;; [unrolled: 1-line block ×6, first 2 shown]
	v_add_f64 v[12:13], v[39:40], v[20:21]
	v_add_f64 v[36:37], v[74:75], -v[39:40]
	v_add_f64 v[20:21], v[22:23], -v[26:27]
	v_fma_f64 v[12:13], v[12:13], -0.5, v[14:15]
	v_add_f64 v[16:17], v[36:37], v[16:17]
	v_add_f64 v[36:37], v[34:35], -v[30:31]
	v_fma_f64 v[14:15], v[51:52], s[18:19], v[12:13]
	v_fma_f64 v[12:13], v[51:52], s[8:9], v[12:13]
	v_add_f64 v[20:21], v[20:21], v[36:37]
	v_fma_f64 v[14:15], v[18:19], s[16:17], v[14:15]
	v_fma_f64 v[12:13], v[18:19], s[14:15], v[12:13]
	v_add_f64 v[18:19], v[28:29], -v[32:33]
	v_fma_f64 v[78:79], v[16:17], s[6:7], v[14:15]
	v_fma_f64 v[74:75], v[16:17], s[6:7], v[12:13]
	v_add_f64 v[12:13], v[0:1], v[22:23]
	v_add_f64 v[14:15], v[24:25], -v[41:42]
	v_add_f64 v[12:13], v[12:13], v[26:27]
	v_add_f64 v[12:13], v[12:13], v[30:31]
	v_add_f64 v[88:89], v[12:13], v[34:35]
	v_add_f64 v[12:13], v[26:27], v[30:31]
	v_fma_f64 v[12:13], v[12:13], -0.5, v[0:1]
	v_fma_f64 v[16:17], v[14:15], s[18:19], v[12:13]
	v_fma_f64 v[12:13], v[14:15], s[8:9], v[12:13]
	;; [unrolled: 1-line block ×6, first 2 shown]
	v_add_f64 v[12:13], v[22:23], v[34:35]
	v_add_f64 v[16:17], v[26:27], -v[22:23]
	v_add_f64 v[20:21], v[30:31], -v[34:35]
	v_fma_f64 v[0:1], v[12:13], -0.5, v[0:1]
	v_add_f64 v[16:17], v[16:17], v[20:21]
	v_add_f64 v[20:21], v[41:42], -v[32:33]
	v_fma_f64 v[12:13], v[18:19], s[8:9], v[0:1]
	v_fma_f64 v[0:1], v[18:19], s[18:19], v[0:1]
	v_add_f64 v[18:19], v[24:25], -v[28:29]
	v_fma_f64 v[12:13], v[14:15], s[14:15], v[12:13]
	v_fma_f64 v[0:1], v[14:15], s[16:17], v[0:1]
	v_add_f64 v[18:19], v[18:19], v[20:21]
	v_add_f64 v[20:21], v[49:50], -v[47:48]
	v_fma_f64 v[112:113], v[16:17], s[6:7], v[12:13]
	v_fma_f64 v[108:109], v[16:17], s[6:7], v[0:1]
	v_add_f64 v[0:1], v[2:3], v[24:25]
	v_add_f64 v[12:13], v[22:23], -v[34:35]
	v_add_f64 v[16:17], v[26:27], -v[30:31]
	;; [unrolled: 1-line block ×3, first 2 shown]
	v_add_f64 v[0:1], v[0:1], v[28:29]
	v_add_f64 v[0:1], v[0:1], v[32:33]
	;; [unrolled: 1-line block ×4, first 2 shown]
	v_fma_f64 v[0:1], v[0:1], -0.5, v[2:3]
	v_fma_f64 v[14:15], v[12:13], s[8:9], v[0:1]
	v_fma_f64 v[0:1], v[12:13], s[18:19], v[0:1]
	;; [unrolled: 1-line block ×6, first 2 shown]
	v_add_f64 v[0:1], v[24:25], v[41:42]
	v_add_f64 v[14:15], v[28:29], -v[24:25]
	v_add_f64 v[18:19], v[32:33], -v[41:42]
	v_fma_f64 v[0:1], v[0:1], -0.5, v[2:3]
	v_add_f64 v[14:15], v[14:15], v[18:19]
	v_add_f64 v[18:19], v[43:44], -v[45:46]
	v_fma_f64 v[2:3], v[16:17], s[18:19], v[0:1]
	v_fma_f64 v[0:1], v[16:17], s[8:9], v[0:1]
	v_add_f64 v[16:17], v[6:7], -v[8:9]
	v_add_f64 v[18:19], v[18:19], v[20:21]
	v_add_f64 v[20:21], v[47:48], -v[49:50]
	v_fma_f64 v[2:3], v[12:13], s[16:17], v[2:3]
	v_fma_f64 v[0:1], v[12:13], s[14:15], v[0:1]
	v_add_f64 v[12:13], v[4:5], -v[10:11]
	v_fma_f64 v[114:115], v[14:15], s[6:7], v[2:3]
	v_add_f64 v[2:3], v[45:46], v[47:48]
	v_fma_f64 v[110:111], v[14:15], s[6:7], v[0:1]
	v_add_f64 v[0:1], v[80:81], v[43:44]
	v_fma_f64 v[2:3], v[2:3], -0.5, v[80:81]
	v_add_f64 v[0:1], v[0:1], v[45:46]
	v_fma_f64 v[14:15], v[12:13], s[18:19], v[2:3]
	v_fma_f64 v[2:3], v[12:13], s[8:9], v[2:3]
	v_add_f64 v[0:1], v[0:1], v[47:48]
	v_fma_f64 v[14:15], v[16:17], s[14:15], v[14:15]
	v_fma_f64 v[2:3], v[16:17], s[16:17], v[2:3]
	;; [unrolled: 3-line block ×3, first 2 shown]
	v_add_f64 v[2:3], v[43:44], v[49:50]
	v_add_f64 v[18:19], v[45:46], -v[43:44]
	v_fma_f64 v[2:3], v[2:3], -0.5, v[80:81]
	v_add_f64 v[18:19], v[18:19], v[20:21]
	v_add_f64 v[20:21], v[4:5], -v[6:7]
	v_fma_f64 v[14:15], v[16:17], s[8:9], v[2:3]
	v_fma_f64 v[2:3], v[16:17], s[18:19], v[2:3]
	v_add_f64 v[20:21], v[20:21], v[22:23]
	v_fma_f64 v[14:15], v[12:13], s[14:15], v[14:15]
	v_fma_f64 v[2:3], v[12:13], s[16:17], v[2:3]
	v_add_f64 v[12:13], v[6:7], v[8:9]
	v_fma_f64 v[104:105], v[18:19], s[6:7], v[14:15]
	v_add_f64 v[14:15], v[43:44], -v[49:50]
	v_fma_f64 v[12:13], v[12:13], -0.5, v[82:83]
	v_fma_f64 v[80:81], v[18:19], s[6:7], v[2:3]
	v_add_f64 v[18:19], v[45:46], -v[47:48]
	v_add_f64 v[2:3], v[82:83], v[4:5]
	v_fma_f64 v[16:17], v[14:15], s[8:9], v[12:13]
	v_fma_f64 v[12:13], v[14:15], s[18:19], v[12:13]
	v_add_f64 v[2:3], v[2:3], v[6:7]
	v_fma_f64 v[16:17], v[18:19], s[16:17], v[16:17]
	v_fma_f64 v[12:13], v[18:19], s[14:15], v[12:13]
	;; [unrolled: 3-line block ×3, first 2 shown]
	v_add_f64 v[12:13], v[4:5], v[10:11]
	v_add_f64 v[4:5], v[6:7], -v[4:5]
	v_add_f64 v[6:7], v[8:9], -v[10:11]
	v_add_f64 v[2:3], v[2:3], v[10:11]
	v_fma_f64 v[12:13], v[12:13], -0.5, v[82:83]
	v_add_f64 v[4:5], v[4:5], v[6:7]
	v_fma_f64 v[16:17], v[18:19], s[18:19], v[12:13]
	v_fma_f64 v[6:7], v[18:19], s[8:9], v[12:13]
	;; [unrolled: 1-line block ×6, first 2 shown]
	buffer_load_dword v4, off, s[24:27], 0 offset:524 ; 4-byte Folded Reload
	s_waitcnt vmcnt(0)
	ds_write_b128 v4, v[60:63]
	ds_write_b128 v4, v[68:71] offset:144
	ds_write_b128 v4, v[76:79] offset:288
	ds_write_b128 v4, v[72:75] offset:432
	ds_write_b128 v4, v[64:67] offset:576
	buffer_load_dword v4, off, s[24:27], 0 offset:504 ; 4-byte Folded Reload
	s_waitcnt vmcnt(0)
	ds_write_b128 v4, v[88:91]
	ds_write_b128 v4, v[100:103] offset:144
	ds_write_b128 v4, v[112:115] offset:288
	ds_write_b128 v4, v[108:111] offset:432
	ds_write_b128 v4, v[92:95] offset:576
	;; [unrolled: 7-line block ×3, first 2 shown]
	s_waitcnt lgkmcnt(0)
	s_barrier
	ds_read_b128 v[16:19], v38
	ds_read_b128 v[4:7], v38 offset:6480
	ds_read_b128 v[8:11], v38 offset:12960
	;; [unrolled: 1-line block ×14, first 2 shown]
	s_waitcnt lgkmcnt(13)
	v_mul_f64 v[36:37], v[166:167], v[6:7]
	s_waitcnt lgkmcnt(0)
	s_barrier
	v_fma_f64 v[39:40], v[164:165], v[4:5], v[36:37]
	v_mul_f64 v[4:5], v[166:167], v[4:5]
	v_fma_f64 v[4:5], v[164:165], v[6:7], -v[4:5]
	v_mul_f64 v[6:7], v[158:159], v[10:11]
	v_fma_f64 v[66:67], v[156:157], v[8:9], v[6:7]
	v_mul_f64 v[6:7], v[158:159], v[8:9]
	v_mul_f64 v[8:9], v[226:227], v[51:52]
	v_fma_f64 v[74:75], v[156:157], v[10:11], -v[6:7]
	v_mul_f64 v[6:7], v[154:155], v[14:15]
	v_fma_f64 v[36:37], v[224:225], v[49:50], v[8:9]
	v_mul_f64 v[8:9], v[226:227], v[49:50]
	v_mul_f64 v[10:11], v[218:219], v[55:56]
	v_fma_f64 v[70:71], v[152:153], v[12:13], v[6:7]
	v_mul_f64 v[6:7], v[154:155], v[12:13]
	v_mul_f64 v[12:13], v[210:211], v[59:60]
	v_fma_f64 v[8:9], v[224:225], v[51:52], -v[8:9]
	v_fma_f64 v[102:103], v[216:217], v[53:54], v[10:11]
	v_mul_f64 v[10:11], v[218:219], v[53:54]
	v_add_f64 v[51:52], v[39:40], -v[66:67]
	v_fma_f64 v[78:79], v[152:153], v[14:15], -v[6:7]
	v_mul_f64 v[6:7], v[150:151], v[22:23]
	v_fma_f64 v[94:95], v[208:209], v[57:58], v[12:13]
	v_mul_f64 v[12:13], v[210:211], v[57:58]
	v_fma_f64 v[10:11], v[216:217], v[55:56], -v[10:11]
	v_add_f64 v[49:50], v[74:75], -v[78:79]
	v_fma_f64 v[84:85], v[148:149], v[20:21], v[6:7]
	v_mul_f64 v[6:7], v[150:151], v[20:21]
	v_fma_f64 v[12:13], v[208:209], v[59:60], -v[12:13]
	v_add_f64 v[53:54], v[84:85], -v[70:71]
	v_fma_f64 v[20:21], v[148:149], v[22:23], -v[6:7]
	v_mul_f64 v[6:7], v[190:191], v[26:27]
	v_add_f64 v[51:52], v[51:52], v[53:54]
	v_fma_f64 v[22:23], v[188:189], v[24:25], v[6:7]
	v_mul_f64 v[6:7], v[190:191], v[24:25]
	v_fma_f64 v[24:25], v[188:189], v[26:27], -v[6:7]
	v_mul_f64 v[6:7], v[182:183], v[30:31]
	v_fma_f64 v[26:27], v[180:181], v[28:29], v[6:7]
	v_mul_f64 v[6:7], v[182:183], v[28:29]
	v_fma_f64 v[28:29], v[180:181], v[30:31], -v[6:7]
	v_mul_f64 v[6:7], v[174:175], v[34:35]
	;; [unrolled: 4-line block ×3, first 2 shown]
	v_fma_f64 v[34:35], v[168:169], v[41:42], v[6:7]
	v_mul_f64 v[6:7], v[170:171], v[41:42]
	v_fma_f64 v[41:42], v[168:169], v[43:44], -v[6:7]
	v_add_f64 v[43:44], v[16:17], v[39:40]
	v_mul_f64 v[6:7], v[246:247], v[47:48]
	v_add_f64 v[43:44], v[43:44], v[66:67]
	v_fma_f64 v[14:15], v[244:245], v[45:46], v[6:7]
	v_mul_f64 v[6:7], v[246:247], v[45:46]
	v_add_f64 v[45:46], v[4:5], -v[20:21]
	v_add_f64 v[43:44], v[43:44], v[70:71]
	v_fma_f64 v[6:7], v[244:245], v[47:48], -v[6:7]
	v_add_f64 v[60:61], v[43:44], v[84:85]
	v_add_f64 v[43:44], v[66:67], v[70:71]
	v_fma_f64 v[43:44], v[43:44], -0.5, v[16:17]
	v_fma_f64 v[47:48], v[45:46], s[18:19], v[43:44]
	v_fma_f64 v[43:44], v[45:46], s[8:9], v[43:44]
	;; [unrolled: 1-line block ×6, first 2 shown]
	v_add_f64 v[43:44], v[39:40], v[84:85]
	v_add_f64 v[47:48], v[66:67], -v[39:40]
	v_add_f64 v[51:52], v[70:71], -v[84:85]
	;; [unrolled: 1-line block ×3, first 2 shown]
	v_fma_f64 v[16:17], v[43:44], -0.5, v[16:17]
	v_add_f64 v[47:48], v[47:48], v[51:52]
	v_fma_f64 v[43:44], v[49:50], s[8:9], v[16:17]
	v_fma_f64 v[16:17], v[49:50], s[18:19], v[16:17]
	v_add_f64 v[49:50], v[20:21], -v[78:79]
	v_fma_f64 v[43:44], v[45:46], s[14:15], v[43:44]
	v_fma_f64 v[16:17], v[45:46], s[16:17], v[16:17]
	v_add_f64 v[45:46], v[66:67], -v[70:71]
	v_fma_f64 v[76:77], v[47:48], s[6:7], v[43:44]
	v_fma_f64 v[72:73], v[47:48], s[6:7], v[16:17]
	v_add_f64 v[16:17], v[18:19], v[4:5]
	v_add_f64 v[47:48], v[4:5], -v[74:75]
	v_add_f64 v[16:17], v[16:17], v[74:75]
	v_add_f64 v[47:48], v[47:48], v[49:50]
	v_add_f64 v[16:17], v[16:17], v[78:79]
	v_add_f64 v[62:63], v[16:17], v[20:21]
	v_add_f64 v[16:17], v[74:75], v[78:79]
	v_fma_f64 v[16:17], v[16:17], -0.5, v[18:19]
	v_fma_f64 v[43:44], v[39:40], s[8:9], v[16:17]
	v_fma_f64 v[16:17], v[39:40], s[18:19], v[16:17]
	;; [unrolled: 1-line block ×6, first 2 shown]
	v_add_f64 v[16:17], v[4:5], v[20:21]
	v_add_f64 v[4:5], v[74:75], -v[4:5]
	v_add_f64 v[20:21], v[78:79], -v[20:21]
	;; [unrolled: 1-line block ×3, first 2 shown]
	v_fma_f64 v[16:17], v[16:17], -0.5, v[18:19]
	v_add_f64 v[4:5], v[4:5], v[20:21]
	v_add_f64 v[20:21], v[28:29], -v[32:33]
	v_fma_f64 v[18:19], v[45:46], s[18:19], v[16:17]
	v_fma_f64 v[16:17], v[45:46], s[8:9], v[16:17]
	;; [unrolled: 1-line block ×4, first 2 shown]
	v_add_f64 v[39:40], v[22:23], -v[26:27]
	v_fma_f64 v[78:79], v[4:5], s[6:7], v[18:19]
	v_fma_f64 v[74:75], v[4:5], s[6:7], v[16:17]
	v_add_f64 v[4:5], v[0:1], v[22:23]
	v_add_f64 v[16:17], v[24:25], -v[41:42]
	v_add_f64 v[39:40], v[39:40], v[43:44]
	v_add_f64 v[4:5], v[4:5], v[26:27]
	;; [unrolled: 1-line block ×5, first 2 shown]
	v_fma_f64 v[4:5], v[4:5], -0.5, v[0:1]
	v_fma_f64 v[18:19], v[16:17], s[18:19], v[4:5]
	v_fma_f64 v[4:5], v[16:17], s[8:9], v[4:5]
	;; [unrolled: 1-line block ×6, first 2 shown]
	v_add_f64 v[4:5], v[22:23], v[34:35]
	v_add_f64 v[18:19], v[26:27], -v[22:23]
	v_add_f64 v[39:40], v[30:31], -v[34:35]
	v_fma_f64 v[0:1], v[4:5], -0.5, v[0:1]
	v_add_f64 v[18:19], v[18:19], v[39:40]
	v_fma_f64 v[4:5], v[20:21], s[8:9], v[0:1]
	v_fma_f64 v[0:1], v[20:21], s[18:19], v[0:1]
	v_add_f64 v[20:21], v[24:25], -v[28:29]
	v_fma_f64 v[4:5], v[16:17], s[14:15], v[4:5]
	v_fma_f64 v[0:1], v[16:17], s[16:17], v[0:1]
	;; [unrolled: 1-line block ×4, first 2 shown]
	v_add_f64 v[0:1], v[2:3], v[24:25]
	v_add_f64 v[4:5], v[22:23], -v[34:35]
	v_add_f64 v[18:19], v[26:27], -v[30:31]
	;; [unrolled: 1-line block ×3, first 2 shown]
	v_add_f64 v[0:1], v[0:1], v[28:29]
	v_add_f64 v[20:21], v[20:21], v[22:23]
	v_add_f64 v[22:23], v[94:95], -v[102:103]
	v_add_f64 v[0:1], v[0:1], v[32:33]
	v_add_f64 v[86:87], v[0:1], v[41:42]
	v_add_f64 v[0:1], v[28:29], v[32:33]
	v_fma_f64 v[0:1], v[0:1], -0.5, v[2:3]
	v_fma_f64 v[16:17], v[4:5], s[8:9], v[0:1]
	v_fma_f64 v[0:1], v[4:5], s[18:19], v[0:1]
	;; [unrolled: 1-line block ×6, first 2 shown]
	v_add_f64 v[0:1], v[24:25], v[41:42]
	v_add_f64 v[16:17], v[28:29], -v[24:25]
	v_add_f64 v[20:21], v[32:33], -v[41:42]
	;; [unrolled: 1-line block ×3, first 2 shown]
	v_fma_f64 v[0:1], v[0:1], -0.5, v[2:3]
	v_add_f64 v[16:17], v[16:17], v[20:21]
	v_add_f64 v[20:21], v[14:15], -v[36:37]
	v_fma_f64 v[2:3], v[18:19], s[18:19], v[0:1]
	v_fma_f64 v[0:1], v[18:19], s[8:9], v[0:1]
	v_add_f64 v[18:19], v[8:9], -v[10:11]
	v_add_f64 v[20:21], v[20:21], v[22:23]
	v_add_f64 v[22:23], v[102:103], -v[94:95]
	v_fma_f64 v[2:3], v[4:5], s[16:17], v[2:3]
	v_fma_f64 v[0:1], v[4:5], s[14:15], v[0:1]
	;; [unrolled: 1-line block ×3, first 2 shown]
	v_add_f64 v[2:3], v[36:37], v[102:103]
	v_fma_f64 v[106:107], v[16:17], s[6:7], v[0:1]
	v_add_f64 v[16:17], v[6:7], -v[12:13]
	v_add_f64 v[0:1], v[80:81], v[14:15]
	v_fma_f64 v[2:3], v[2:3], -0.5, v[80:81]
	v_add_f64 v[0:1], v[0:1], v[36:37]
	v_fma_f64 v[4:5], v[16:17], s[18:19], v[2:3]
	v_fma_f64 v[2:3], v[16:17], s[8:9], v[2:3]
	v_add_f64 v[0:1], v[0:1], v[102:103]
	v_fma_f64 v[4:5], v[18:19], s[14:15], v[4:5]
	v_fma_f64 v[2:3], v[18:19], s[16:17], v[2:3]
	;; [unrolled: 3-line block ×3, first 2 shown]
	v_add_f64 v[2:3], v[14:15], v[94:95]
	v_add_f64 v[20:21], v[36:37], -v[14:15]
	v_add_f64 v[14:15], v[14:15], -v[94:95]
	v_fma_f64 v[2:3], v[2:3], -0.5, v[80:81]
	v_add_f64 v[20:21], v[20:21], v[22:23]
	v_add_f64 v[22:23], v[6:7], -v[8:9]
	v_fma_f64 v[4:5], v[18:19], s[8:9], v[2:3]
	v_fma_f64 v[2:3], v[18:19], s[18:19], v[2:3]
	v_add_f64 v[22:23], v[22:23], v[24:25]
	v_fma_f64 v[4:5], v[16:17], s[14:15], v[4:5]
	v_fma_f64 v[2:3], v[16:17], s[16:17], v[2:3]
	v_add_f64 v[16:17], v[8:9], v[10:11]
	v_fma_f64 v[4:5], v[20:21], s[6:7], v[4:5]
	v_fma_f64 v[80:81], v[20:21], s[6:7], v[2:3]
	v_fma_f64 v[16:17], v[16:17], -0.5, v[82:83]
	v_add_f64 v[20:21], v[36:37], -v[102:103]
	v_add_f64 v[2:3], v[82:83], v[6:7]
	v_fma_f64 v[18:19], v[14:15], s[8:9], v[16:17]
	v_fma_f64 v[16:17], v[14:15], s[18:19], v[16:17]
	v_add_f64 v[2:3], v[2:3], v[8:9]
	v_fma_f64 v[18:19], v[20:21], s[16:17], v[18:19]
	v_fma_f64 v[16:17], v[20:21], s[14:15], v[16:17]
	;; [unrolled: 3-line block ×3, first 2 shown]
	v_add_f64 v[16:17], v[6:7], v[12:13]
	v_add_f64 v[6:7], v[8:9], -v[6:7]
	v_add_f64 v[8:9], v[10:11], -v[12:13]
	v_add_f64 v[2:3], v[2:3], v[12:13]
	v_fma_f64 v[16:17], v[16:17], -0.5, v[82:83]
	v_add_f64 v[8:9], v[6:7], v[8:9]
	v_fma_f64 v[18:19], v[20:21], s[18:19], v[16:17]
	v_fma_f64 v[10:11], v[20:21], s[8:9], v[16:17]
	v_fma_f64 v[18:19], v[14:15], s[16:17], v[18:19]
	v_fma_f64 v[10:11], v[14:15], s[14:15], v[10:11]
	v_fma_f64 v[6:7], v[8:9], s[6:7], v[18:19]
	v_fma_f64 v[82:83], v[8:9], s[6:7], v[10:11]
	buffer_load_dword v8, off, s[24:27], 0 offset:528 ; 4-byte Folded Reload
	s_waitcnt vmcnt(0)
	ds_write_b128 v8, v[60:63]
	ds_write_b128 v8, v[68:71] offset:720
	ds_write_b128 v8, v[76:79] offset:1440
	ds_write_b128 v8, v[72:75] offset:2160
	ds_write_b128 v8, v[64:67] offset:2880
	buffer_load_dword v8, off, s[24:27], 0 offset:516 ; 4-byte Folded Reload
	s_waitcnt vmcnt(0)
	ds_write_b128 v8, v[84:87]
	ds_write_b128 v8, v[96:99] offset:720
	ds_write_b128 v8, v[108:111] offset:1440
	ds_write_b128 v8, v[104:107] offset:2160
	ds_write_b128 v8, v[88:91] offset:2880
	buffer_load_dword v8, off, s[24:27], 0 offset:500 ; 4-byte Folded Reload
	s_waitcnt vmcnt(0)
	ds_write_b128 v8, v[0:3]
	ds_write_b128 v8, v[100:103] offset:720
	ds_write_b128 v8, v[4:7] offset:1440
	ds_write_b128 v8, v[80:83] offset:2160
	ds_write_b128 v8, v[92:95] offset:2880
	s_waitcnt lgkmcnt(0)
	s_barrier
	ds_read_b128 v[0:3], v38
	ds_read_b128 v[4:7], v38 offset:10800
	ds_read_b128 v[8:11], v38 offset:21600
	;; [unrolled: 1-line block ×14, first 2 shown]
	s_waitcnt lgkmcnt(13)
	v_mul_f64 v[36:37], v[178:179], v[6:7]
	s_waitcnt lgkmcnt(0)
	s_barrier
	s_mul_hi_u32 s6, s0, 0xffffb410
	s_sub_i32 s6, s6, s0
	v_fma_f64 v[36:37], v[176:177], v[4:5], v[36:37]
	v_mul_f64 v[4:5], v[178:179], v[4:5]
	v_fma_f64 v[63:64], v[176:177], v[6:7], -v[4:5]
	v_mul_f64 v[4:5], v[162:163], v[10:11]
	v_fma_f64 v[65:66], v[160:161], v[8:9], v[4:5]
	v_mul_f64 v[4:5], v[162:163], v[8:9]
	v_add_f64 v[6:7], v[36:37], v[65:66]
	v_fma_f64 v[10:11], v[160:161], v[10:11], -v[4:5]
	v_mul_f64 v[4:5], v[194:195], v[18:19]
	v_fma_f64 v[6:7], v[6:7], -0.5, v[0:1]
	v_add_f64 v[8:9], v[63:64], -v[10:11]
	v_fma_f64 v[67:68], v[192:193], v[16:17], v[4:5]
	v_mul_f64 v[4:5], v[194:195], v[16:17]
	v_add_f64 v[16:17], v[36:37], -v[65:66]
	v_fma_f64 v[69:70], v[192:193], v[18:19], -v[4:5]
	v_mul_f64 v[4:5], v[186:187], v[22:23]
	v_fma_f64 v[71:72], v[184:185], v[20:21], v[4:5]
	v_mul_f64 v[4:5], v[186:187], v[20:21]
	v_add_f64 v[18:19], v[67:68], v[71:72]
	v_fma_f64 v[22:23], v[184:185], v[22:23], -v[4:5]
	v_mul_f64 v[4:5], v[214:215], v[30:31]
	v_fma_f64 v[18:19], v[18:19], -0.5, v[12:13]
	v_add_f64 v[20:21], v[69:70], -v[22:23]
	v_fma_f64 v[73:74], v[212:213], v[28:29], v[4:5]
	v_mul_f64 v[4:5], v[214:215], v[28:29]
	v_add_f64 v[28:29], v[67:68], -v[71:72]
	v_fma_f64 v[75:76], v[212:213], v[30:31], -v[4:5]
	v_mul_f64 v[4:5], v[202:203], v[34:35]
	v_fma_f64 v[77:78], v[200:201], v[32:33], v[4:5]
	v_mul_f64 v[4:5], v[202:203], v[32:33]
	v_add_f64 v[30:31], v[73:74], v[77:78]
	v_fma_f64 v[34:35], v[200:201], v[34:35], -v[4:5]
	v_mul_f64 v[4:5], v[242:243], v[45:46]
	v_fma_f64 v[30:31], v[30:31], -0.5, v[24:25]
	v_add_f64 v[32:33], v[75:76], -v[34:35]
	v_fma_f64 v[79:80], v[240:241], v[43:44], v[4:5]
	v_mul_f64 v[4:5], v[242:243], v[43:44]
	v_fma_f64 v[81:82], v[240:241], v[45:46], -v[4:5]
	v_mul_f64 v[4:5], v[230:231], v[49:50]
	v_fma_f64 v[83:84], v[228:229], v[47:48], v[4:5]
	v_mul_f64 v[4:5], v[230:231], v[47:48]
	v_fma_f64 v[49:50], v[228:229], v[49:50], -v[4:5]
	v_mul_f64 v[4:5], v[126:127], v[57:58]
	v_add_f64 v[45:46], v[81:82], -v[49:50]
	v_fma_f64 v[85:86], v[124:125], v[55:56], v[4:5]
	v_mul_f64 v[4:5], v[126:127], v[55:56]
	v_fma_f64 v[87:88], v[124:125], v[57:58], -v[4:5]
	v_mul_f64 v[4:5], v[134:135], v[61:62]
	v_fma_f64 v[89:90], v[132:133], v[59:60], v[4:5]
	v_mul_f64 v[4:5], v[134:135], v[59:60]
	v_fma_f64 v[61:62], v[132:133], v[61:62], -v[4:5]
	v_add_f64 v[4:5], v[0:1], v[36:37]
	v_fma_f64 v[0:1], v[8:9], s[2:3], v[6:7]
	v_fma_f64 v[8:9], v[8:9], s[4:5], v[6:7]
	v_add_f64 v[6:7], v[2:3], v[63:64]
	v_add_f64 v[36:37], v[73:74], -v[77:78]
	v_add_f64 v[57:58], v[87:88], -v[61:62]
	v_add_f64 v[4:5], v[4:5], v[65:66]
	v_add_f64 v[6:7], v[6:7], v[10:11]
	;; [unrolled: 1-line block ×3, first 2 shown]
	v_fma_f64 v[10:11], v[10:11], -0.5, v[2:3]
	v_fma_f64 v[2:3], v[16:17], s[4:5], v[10:11]
	v_fma_f64 v[10:11], v[16:17], s[2:3], v[10:11]
	ds_write_b128 v38, v[4:7]
	ds_write_b128 v38, v[0:3] offset:3600
	ds_write_b128 v38, v[8:11] offset:7200
	buffer_load_dword v0, off, s[24:27], 0 offset:520 ; 4-byte Folded Reload
	v_add_f64 v[16:17], v[12:13], v[67:68]
	v_fma_f64 v[12:13], v[20:21], s[2:3], v[18:19]
	v_fma_f64 v[20:21], v[20:21], s[4:5], v[18:19]
	v_add_f64 v[18:19], v[14:15], v[69:70]
	v_add_f64 v[16:17], v[16:17], v[71:72]
	;; [unrolled: 1-line block ×4, first 2 shown]
	v_fma_f64 v[22:23], v[22:23], -0.5, v[14:15]
	v_fma_f64 v[14:15], v[28:29], s[4:5], v[22:23]
	v_fma_f64 v[22:23], v[28:29], s[2:3], v[22:23]
	v_add_f64 v[28:29], v[24:25], v[73:74]
	v_fma_f64 v[24:25], v[32:33], s[2:3], v[30:31]
	v_fma_f64 v[32:33], v[32:33], s[4:5], v[30:31]
	v_add_f64 v[30:31], v[26:27], v[75:76]
	v_add_f64 v[28:29], v[28:29], v[77:78]
	;; [unrolled: 1-line block ×4, first 2 shown]
	v_fma_f64 v[34:35], v[34:35], -0.5, v[26:27]
	v_fma_f64 v[26:27], v[36:37], s[4:5], v[34:35]
	v_fma_f64 v[34:35], v[36:37], s[2:3], v[34:35]
	s_waitcnt vmcnt(0)
	ds_write_b128 v0, v[16:19]
	ds_write_b128 v0, v[12:15] offset:3600
	ds_write_b128 v0, v[20:23] offset:7200
	;; [unrolled: 1-line block ×5, first 2 shown]
	buffer_load_dword v0, off, s[24:27], 0 offset:512 ; 4-byte Folded Reload
	v_add_f64 v[36:37], v[39:40], v[79:80]
	v_add_f64 v[43:44], v[36:37], v[83:84]
	;; [unrolled: 1-line block ×3, first 2 shown]
	v_fma_f64 v[36:37], v[36:37], -0.5, v[39:40]
	v_fma_f64 v[39:40], v[45:46], s[2:3], v[36:37]
	v_fma_f64 v[47:48], v[45:46], s[4:5], v[36:37]
	v_add_f64 v[36:37], v[41:42], v[81:82]
	v_add_f64 v[45:46], v[36:37], v[49:50]
	;; [unrolled: 1-line block ×3, first 2 shown]
	v_add_f64 v[49:50], v[79:80], -v[83:84]
	v_fma_f64 v[36:37], v[36:37], -0.5, v[41:42]
	v_fma_f64 v[41:42], v[49:50], s[4:5], v[36:37]
	v_fma_f64 v[49:50], v[49:50], s[2:3], v[36:37]
	s_waitcnt vmcnt(0)
	ds_write_b128 v0, v[43:46]
	ds_write_b128 v0, v[39:42] offset:3600
	ds_write_b128 v0, v[47:50] offset:7200
	buffer_load_dword v0, off, s[24:27], 0 offset:508 ; 4-byte Folded Reload
	v_add_f64 v[36:37], v[51:52], v[85:86]
	v_add_f64 v[55:56], v[36:37], v[89:90]
	v_add_f64 v[36:37], v[85:86], v[89:90]
	v_fma_f64 v[36:37], v[36:37], -0.5, v[51:52]
	v_fma_f64 v[51:52], v[57:58], s[2:3], v[36:37]
	v_fma_f64 v[59:60], v[57:58], s[4:5], v[36:37]
	v_add_f64 v[36:37], v[53:54], v[87:88]
	v_add_f64 v[57:58], v[36:37], v[61:62]
	;; [unrolled: 1-line block ×3, first 2 shown]
	v_add_f64 v[61:62], v[85:86], -v[89:90]
	v_fma_f64 v[36:37], v[36:37], -0.5, v[53:54]
	v_fma_f64 v[53:54], v[61:62], s[4:5], v[36:37]
	v_fma_f64 v[61:62], v[61:62], s[2:3], v[36:37]
	s_waitcnt vmcnt(0)
	ds_write_b128 v0, v[55:58] offset:21600
	ds_write_b128 v0, v[51:54] offset:25200
	;; [unrolled: 1-line block ×3, first 2 shown]
	s_waitcnt lgkmcnt(0)
	s_barrier
	ds_read_b128 v[12:15], v38
	ds_read_b128 v[16:19], v38 offset:10800
	ds_read_b128 v[20:23], v38 offset:21600
	;; [unrolled: 1-line block ×14, first 2 shown]
	s_waitcnt lgkmcnt(13)
	v_mul_f64 v[36:37], v[206:207], v[18:19]
	v_fma_f64 v[36:37], v[204:205], v[16:17], v[36:37]
	v_mul_f64 v[16:17], v[206:207], v[16:17]
	v_fma_f64 v[63:64], v[204:205], v[18:19], -v[16:17]
	s_waitcnt lgkmcnt(12)
	v_mul_f64 v[16:17], v[198:199], v[22:23]
	v_fma_f64 v[65:66], v[196:197], v[20:21], v[16:17]
	v_mul_f64 v[16:17], v[198:199], v[20:21]
	v_add_f64 v[18:19], v[36:37], v[65:66]
	v_fma_f64 v[22:23], v[196:197], v[22:23], -v[16:17]
	s_waitcnt lgkmcnt(10)
	v_mul_f64 v[16:17], v[234:235], v[30:31]
	v_fma_f64 v[18:19], v[18:19], -0.5, v[12:13]
	v_add_f64 v[20:21], v[63:64], -v[22:23]
	v_fma_f64 v[67:68], v[232:233], v[28:29], v[16:17]
	v_mul_f64 v[16:17], v[234:235], v[28:29]
	v_add_f64 v[28:29], v[36:37], -v[65:66]
	v_fma_f64 v[69:70], v[232:233], v[30:31], -v[16:17]
	s_waitcnt lgkmcnt(9)
	v_mul_f64 v[16:17], v[222:223], v[34:35]
	v_fma_f64 v[71:72], v[220:221], v[32:33], v[16:17]
	v_mul_f64 v[16:17], v[222:223], v[32:33]
	v_add_f64 v[30:31], v[67:68], v[71:72]
	v_fma_f64 v[34:35], v[220:221], v[34:35], -v[16:17]
	s_waitcnt lgkmcnt(7)
	v_mul_f64 v[16:17], v[138:139], v[41:42]
	v_fma_f64 v[30:31], v[30:31], -0.5, v[24:25]
	v_add_f64 v[32:33], v[69:70], -v[34:35]
	v_fma_f64 v[73:74], v[136:137], v[39:40], v[16:17]
	v_mul_f64 v[16:17], v[138:139], v[39:40]
	v_fma_f64 v[75:76], v[136:137], v[41:42], -v[16:17]
	s_waitcnt lgkmcnt(6)
	v_mul_f64 v[16:17], v[238:239], v[45:46]
	v_fma_f64 v[77:78], v[236:237], v[43:44], v[16:17]
	v_mul_f64 v[16:17], v[238:239], v[43:44]
	v_fma_f64 v[45:46], v[236:237], v[45:46], -v[16:17]
	s_waitcnt lgkmcnt(4)
	v_mul_f64 v[16:17], v[130:131], v[49:50]
	v_add_f64 v[41:42], v[75:76], -v[45:46]
	v_fma_f64 v[79:80], v[128:129], v[47:48], v[16:17]
	v_mul_f64 v[16:17], v[130:131], v[47:48]
	v_fma_f64 v[81:82], v[128:129], v[49:50], -v[16:17]
	s_waitcnt lgkmcnt(3)
	v_mul_f64 v[16:17], v[254:255], v[53:54]
	v_fma_f64 v[83:84], v[252:253], v[51:52], v[16:17]
	v_mul_f64 v[16:17], v[254:255], v[51:52]
	v_fma_f64 v[53:54], v[252:253], v[53:54], -v[16:17]
	s_waitcnt lgkmcnt(1)
	v_mul_f64 v[16:17], v[118:119], v[57:58]
	v_add_f64 v[49:50], v[81:82], -v[53:54]
	v_fma_f64 v[85:86], v[116:117], v[55:56], v[16:17]
	v_mul_f64 v[16:17], v[118:119], v[55:56]
	v_fma_f64 v[87:88], v[116:117], v[57:58], -v[16:17]
	s_waitcnt lgkmcnt(0)
	v_mul_f64 v[16:17], v[122:123], v[61:62]
	v_fma_f64 v[89:90], v[120:121], v[59:60], v[16:17]
	v_mul_f64 v[16:17], v[122:123], v[59:60]
	v_fma_f64 v[61:62], v[120:121], v[61:62], -v[16:17]
	v_add_f64 v[16:17], v[12:13], v[36:37]
	v_fma_f64 v[12:13], v[20:21], s[2:3], v[18:19]
	v_fma_f64 v[20:21], v[20:21], s[4:5], v[18:19]
	v_add_f64 v[18:19], v[14:15], v[63:64]
	v_add_f64 v[36:37], v[67:68], -v[71:72]
	v_add_f64 v[57:58], v[87:88], -v[61:62]
	v_add_f64 v[16:17], v[16:17], v[65:66]
	v_add_f64 v[18:19], v[18:19], v[22:23]
	;; [unrolled: 1-line block ×3, first 2 shown]
	v_fma_f64 v[22:23], v[22:23], -0.5, v[14:15]
	v_fma_f64 v[14:15], v[28:29], s[4:5], v[22:23]
	v_fma_f64 v[22:23], v[28:29], s[2:3], v[22:23]
	v_add_f64 v[28:29], v[24:25], v[67:68]
	v_fma_f64 v[24:25], v[32:33], s[2:3], v[30:31]
	v_fma_f64 v[32:33], v[32:33], s[4:5], v[30:31]
	v_add_f64 v[30:31], v[26:27], v[69:70]
	v_add_f64 v[28:29], v[28:29], v[71:72]
	;; [unrolled: 1-line block ×4, first 2 shown]
	v_fma_f64 v[34:35], v[34:35], -0.5, v[26:27]
	v_fma_f64 v[26:27], v[36:37], s[4:5], v[34:35]
	v_fma_f64 v[34:35], v[36:37], s[2:3], v[34:35]
	v_add_f64 v[36:37], v[8:9], v[73:74]
	v_add_f64 v[39:40], v[36:37], v[77:78]
	v_add_f64 v[36:37], v[73:74], v[77:78]
	v_fma_f64 v[36:37], v[36:37], -0.5, v[8:9]
	v_fma_f64 v[8:9], v[41:42], s[2:3], v[36:37]
	v_fma_f64 v[43:44], v[41:42], s[4:5], v[36:37]
	v_add_f64 v[36:37], v[10:11], v[75:76]
	v_add_f64 v[41:42], v[36:37], v[45:46]
	v_add_f64 v[36:37], v[75:76], v[45:46]
	v_add_f64 v[45:46], v[73:74], -v[77:78]
	v_fma_f64 v[36:37], v[36:37], -0.5, v[10:11]
	v_fma_f64 v[10:11], v[45:46], s[4:5], v[36:37]
	v_fma_f64 v[45:46], v[45:46], s[2:3], v[36:37]
	v_add_f64 v[36:37], v[4:5], v[79:80]
	v_add_f64 v[47:48], v[36:37], v[83:84]
	v_add_f64 v[36:37], v[79:80], v[83:84]
	v_fma_f64 v[36:37], v[36:37], -0.5, v[4:5]
	v_fma_f64 v[4:5], v[49:50], s[2:3], v[36:37]
	v_fma_f64 v[51:52], v[49:50], s[4:5], v[36:37]
	v_add_f64 v[36:37], v[6:7], v[81:82]
	v_add_f64 v[49:50], v[36:37], v[53:54]
	v_add_f64 v[36:37], v[81:82], v[53:54]
	v_add_f64 v[53:54], v[79:80], -v[83:84]
	;; [unrolled: 13-line block ×3, first 2 shown]
	v_fma_f64 v[36:37], v[36:37], -0.5, v[2:3]
	v_fma_f64 v[2:3], v[61:62], s[4:5], v[36:37]
	v_fma_f64 v[61:62], v[61:62], s[2:3], v[36:37]
	ds_write_b128 v38, v[16:19]
	ds_write_b128 v38, v[12:15] offset:10800
	ds_write_b128 v38, v[20:23] offset:21600
	;; [unrolled: 1-line block ×14, first 2 shown]
	s_waitcnt lgkmcnt(0)
	s_barrier
	ds_read_b128 v[0:3], v38
	buffer_load_dword v6, off, s[24:27], 0 offset:88 ; 4-byte Folded Reload
	buffer_load_dword v7, off, s[24:27], 0 offset:92 ; 4-byte Folded Reload
	;; [unrolled: 1-line block ×4, first 2 shown]
	s_mov_b32 s2, 0xc0898b71
	s_mov_b32 s3, 0x3f402e85
	s_waitcnt vmcnt(0) lgkmcnt(0)
	v_mul_f64 v[4:5], v[8:9], v[2:3]
	v_fma_f64 v[4:5], v[6:7], v[0:1], v[4:5]
	v_mul_f64 v[0:1], v[8:9], v[0:1]
	v_mov_b32_e32 v8, s13
	v_mul_f64 v[4:5], v[4:5], s[2:3]
	v_fma_f64 v[0:1], v[6:7], v[2:3], -v[0:1]
	buffer_load_dword v2, off, s[24:27], 0 offset:248 ; 4-byte Folded Reload
	v_mul_f64 v[6:7], v[0:1], s[2:3]
	s_waitcnt vmcnt(0)
	v_mad_u64_u32 v[0:1], s[4:5], s0, v2, 0
	v_mad_u64_u32 v[1:2], s[4:5], s1, v2, v[1:2]
	buffer_load_dword v2, off, s[24:27], 0 offset:48 ; 4-byte Folded Reload
	buffer_load_dword v3, off, s[24:27], 0 offset:52 ; 4-byte Folded Reload
	s_mul_i32 s4, s1, 0x2a30
	v_lshlrev_b64 v[0:1], 4, v[0:1]
	s_mul_hi_u32 s5, s0, 0x2a30
	s_add_i32 s4, s5, s4
	s_mul_i32 s5, s0, 0x2a30
	s_mulk_i32 s1, 0xb410
	s_add_i32 s1, s6, s1
	s_mulk_i32 s0, 0xb410
	s_waitcnt vmcnt(0)
	v_lshlrev_b64 v[2:3], 4, v[2:3]
	v_add_co_u32_e32 v2, vcc, s12, v2
	v_addc_co_u32_e32 v3, vcc, v8, v3, vcc
	v_add_co_u32_e32 v8, vcc, v2, v0
	v_addc_co_u32_e32 v9, vcc, v3, v1, vcc
	global_store_dwordx4 v[8:9], v[4:7], off
	ds_read_b128 v[0:3], v38 offset:10800
	buffer_load_dword v10, off, s[24:27], 0 offset:120 ; 4-byte Folded Reload
	buffer_load_dword v11, off, s[24:27], 0 offset:124 ; 4-byte Folded Reload
	buffer_load_dword v12, off, s[24:27], 0 offset:128 ; 4-byte Folded Reload
	buffer_load_dword v13, off, s[24:27], 0 offset:132 ; 4-byte Folded Reload
	v_add_co_u32_e32 v8, vcc, s5, v8
	s_waitcnt vmcnt(0) lgkmcnt(0)
	v_mul_f64 v[4:5], v[12:13], v[2:3]
	v_fma_f64 v[4:5], v[10:11], v[0:1], v[4:5]
	v_mul_f64 v[0:1], v[12:13], v[0:1]
	v_mul_f64 v[4:5], v[4:5], s[2:3]
	v_fma_f64 v[0:1], v[10:11], v[2:3], -v[0:1]
	v_mul_f64 v[6:7], v[0:1], s[2:3]
	v_mov_b32_e32 v0, s4
	v_addc_co_u32_e32 v9, vcc, v9, v0, vcc
	ds_read_b128 v[0:3], v38 offset:21600
	global_store_dwordx4 v[8:9], v[4:7], off
	buffer_load_dword v10, off, s[24:27], 0 offset:168 ; 4-byte Folded Reload
	buffer_load_dword v11, off, s[24:27], 0 offset:172 ; 4-byte Folded Reload
	buffer_load_dword v12, off, s[24:27], 0 offset:176 ; 4-byte Folded Reload
	buffer_load_dword v13, off, s[24:27], 0 offset:180 ; 4-byte Folded Reload
	v_add_co_u32_e32 v8, vcc, s5, v8
	s_waitcnt vmcnt(0) lgkmcnt(0)
	v_mul_f64 v[4:5], v[12:13], v[2:3]
	v_fma_f64 v[4:5], v[10:11], v[0:1], v[4:5]
	v_mul_f64 v[0:1], v[12:13], v[0:1]
	v_mul_f64 v[4:5], v[4:5], s[2:3]
	v_fma_f64 v[0:1], v[10:11], v[2:3], -v[0:1]
	v_mul_f64 v[6:7], v[0:1], s[2:3]
	v_mov_b32_e32 v0, s4
	v_addc_co_u32_e32 v9, vcc, v9, v0, vcc
	ds_read_b128 v[0:3], v38 offset:2160
	global_store_dwordx4 v[8:9], v[4:7], off
	;; [unrolled: 16-line block ×10, first 2 shown]
	buffer_load_dword v10, off, s[24:27], 0 offset:232 ; 4-byte Folded Reload
	buffer_load_dword v11, off, s[24:27], 0 offset:236 ; 4-byte Folded Reload
	;; [unrolled: 1-line block ×4, first 2 shown]
	s_waitcnt vmcnt(0) lgkmcnt(0)
	v_mul_f64 v[4:5], v[12:13], v[2:3]
	v_fma_f64 v[4:5], v[10:11], v[0:1], v[4:5]
	v_mul_f64 v[0:1], v[12:13], v[0:1]
	v_mul_f64 v[4:5], v[4:5], s[2:3]
	v_fma_f64 v[0:1], v[10:11], v[2:3], -v[0:1]
	v_mul_f64 v[6:7], v[0:1], s[2:3]
	v_add_co_u32_e32 v0, vcc, s5, v8
	v_mov_b32_e32 v1, s4
	v_addc_co_u32_e32 v1, vcc, v9, v1, vcc
	global_store_dwordx4 v[0:1], v[4:7], off
	ds_read_b128 v[2:5], v38 offset:8640
	buffer_load_dword v8, off, s[24:27], 0 offset:32 ; 4-byte Folded Reload
	buffer_load_dword v9, off, s[24:27], 0 offset:36 ; 4-byte Folded Reload
	;; [unrolled: 1-line block ×4, first 2 shown]
	s_waitcnt vmcnt(0) lgkmcnt(0)
	v_mul_f64 v[6:7], v[10:11], v[4:5]
	v_fma_f64 v[6:7], v[8:9], v[2:3], v[6:7]
	v_mul_f64 v[2:3], v[10:11], v[2:3]
	v_add_co_u32_e32 v10, vcc, s0, v0
	v_mov_b32_e32 v0, s1
	v_addc_co_u32_e32 v11, vcc, v1, v0, vcc
	v_mul_f64 v[6:7], v[6:7], s[2:3]
	v_fma_f64 v[2:3], v[8:9], v[4:5], -v[2:3]
	v_mul_f64 v[8:9], v[2:3], s[2:3]
	ds_read_b128 v[0:3], v38 offset:19440
	global_store_dwordx4 v[10:11], v[6:9], off
	buffer_load_dword v6, off, s[24:27], 0  ; 4-byte Folded Reload
	s_nop 0
	buffer_load_dword v7, off, s[24:27], 0 offset:4 ; 4-byte Folded Reload
	buffer_load_dword v8, off, s[24:27], 0 offset:8 ; 4-byte Folded Reload
	;; [unrolled: 1-line block ×3, first 2 shown]
	s_waitcnt vmcnt(0) lgkmcnt(0)
	v_mul_f64 v[4:5], v[8:9], v[2:3]
	v_fma_f64 v[4:5], v[6:7], v[0:1], v[4:5]
	v_mul_f64 v[0:1], v[8:9], v[0:1]
	v_add_co_u32_e32 v8, vcc, s5, v10
	v_mul_f64 v[4:5], v[4:5], s[2:3]
	v_fma_f64 v[0:1], v[6:7], v[2:3], -v[0:1]
	v_mul_f64 v[6:7], v[0:1], s[2:3]
	v_mov_b32_e32 v0, s4
	v_addc_co_u32_e32 v9, vcc, v11, v0, vcc
	ds_read_b128 v[0:3], v38 offset:30240
	global_store_dwordx4 v[8:9], v[4:7], off
	buffer_load_dword v10, off, s[24:27], 0 offset:16 ; 4-byte Folded Reload
	buffer_load_dword v11, off, s[24:27], 0 offset:20 ; 4-byte Folded Reload
	;; [unrolled: 1-line block ×4, first 2 shown]
	s_waitcnt vmcnt(0) lgkmcnt(0)
	v_mul_f64 v[4:5], v[12:13], v[2:3]
	v_fma_f64 v[4:5], v[10:11], v[0:1], v[4:5]
	v_mul_f64 v[0:1], v[12:13], v[0:1]
	v_mul_f64 v[4:5], v[4:5], s[2:3]
	v_fma_f64 v[0:1], v[10:11], v[2:3], -v[0:1]
	v_mul_f64 v[6:7], v[0:1], s[2:3]
	v_add_co_u32_e32 v0, vcc, s5, v8
	v_mov_b32_e32 v1, s4
	v_addc_co_u32_e32 v1, vcc, v9, v1, vcc
	global_store_dwordx4 v[0:1], v[4:7], off
.LBB0_2:
	s_endpgm
	.section	.rodata,"a",@progbits
	.p2align	6, 0x0
	.amdhsa_kernel bluestein_single_back_len2025_dim1_dp_op_CI_CI
		.amdhsa_group_segment_fixed_size 32400
		.amdhsa_private_segment_fixed_size 544
		.amdhsa_kernarg_size 104
		.amdhsa_user_sgpr_count 6
		.amdhsa_user_sgpr_private_segment_buffer 1
		.amdhsa_user_sgpr_dispatch_ptr 0
		.amdhsa_user_sgpr_queue_ptr 0
		.amdhsa_user_sgpr_kernarg_segment_ptr 1
		.amdhsa_user_sgpr_dispatch_id 0
		.amdhsa_user_sgpr_flat_scratch_init 0
		.amdhsa_user_sgpr_private_segment_size 0
		.amdhsa_uses_dynamic_stack 0
		.amdhsa_system_sgpr_private_segment_wavefront_offset 1
		.amdhsa_system_sgpr_workgroup_id_x 1
		.amdhsa_system_sgpr_workgroup_id_y 0
		.amdhsa_system_sgpr_workgroup_id_z 0
		.amdhsa_system_sgpr_workgroup_info 0
		.amdhsa_system_vgpr_workitem_id 0
		.amdhsa_next_free_vgpr 256
		.amdhsa_next_free_sgpr 28
		.amdhsa_reserve_vcc 1
		.amdhsa_reserve_flat_scratch 0
		.amdhsa_float_round_mode_32 0
		.amdhsa_float_round_mode_16_64 0
		.amdhsa_float_denorm_mode_32 3
		.amdhsa_float_denorm_mode_16_64 3
		.amdhsa_dx10_clamp 1
		.amdhsa_ieee_mode 1
		.amdhsa_fp16_overflow 0
		.amdhsa_exception_fp_ieee_invalid_op 0
		.amdhsa_exception_fp_denorm_src 0
		.amdhsa_exception_fp_ieee_div_zero 0
		.amdhsa_exception_fp_ieee_overflow 0
		.amdhsa_exception_fp_ieee_underflow 0
		.amdhsa_exception_fp_ieee_inexact 0
		.amdhsa_exception_int_div_zero 0
	.end_amdhsa_kernel
	.text
.Lfunc_end0:
	.size	bluestein_single_back_len2025_dim1_dp_op_CI_CI, .Lfunc_end0-bluestein_single_back_len2025_dim1_dp_op_CI_CI
                                        ; -- End function
	.section	.AMDGPU.csdata,"",@progbits
; Kernel info:
; codeLenInByte = 24448
; NumSgprs: 32
; NumVgprs: 256
; ScratchSize: 544
; MemoryBound: 0
; FloatMode: 240
; IeeeMode: 1
; LDSByteSize: 32400 bytes/workgroup (compile time only)
; SGPRBlocks: 3
; VGPRBlocks: 63
; NumSGPRsForWavesPerEU: 32
; NumVGPRsForWavesPerEU: 256
; Occupancy: 1
; WaveLimiterHint : 1
; COMPUTE_PGM_RSRC2:SCRATCH_EN: 1
; COMPUTE_PGM_RSRC2:USER_SGPR: 6
; COMPUTE_PGM_RSRC2:TRAP_HANDLER: 0
; COMPUTE_PGM_RSRC2:TGID_X_EN: 1
; COMPUTE_PGM_RSRC2:TGID_Y_EN: 0
; COMPUTE_PGM_RSRC2:TGID_Z_EN: 0
; COMPUTE_PGM_RSRC2:TIDIG_COMP_CNT: 0
	.type	__hip_cuid_2ba0d4ce8d36e607,@object ; @__hip_cuid_2ba0d4ce8d36e607
	.section	.bss,"aw",@nobits
	.globl	__hip_cuid_2ba0d4ce8d36e607
__hip_cuid_2ba0d4ce8d36e607:
	.byte	0                               ; 0x0
	.size	__hip_cuid_2ba0d4ce8d36e607, 1

	.ident	"AMD clang version 19.0.0git (https://github.com/RadeonOpenCompute/llvm-project roc-6.4.0 25133 c7fe45cf4b819c5991fe208aaa96edf142730f1d)"
	.section	".note.GNU-stack","",@progbits
	.addrsig
	.addrsig_sym __hip_cuid_2ba0d4ce8d36e607
	.amdgpu_metadata
---
amdhsa.kernels:
  - .args:
      - .actual_access:  read_only
        .address_space:  global
        .offset:         0
        .size:           8
        .value_kind:     global_buffer
      - .actual_access:  read_only
        .address_space:  global
        .offset:         8
        .size:           8
        .value_kind:     global_buffer
      - .actual_access:  read_only
        .address_space:  global
        .offset:         16
        .size:           8
        .value_kind:     global_buffer
      - .actual_access:  read_only
        .address_space:  global
        .offset:         24
        .size:           8
        .value_kind:     global_buffer
      - .actual_access:  read_only
        .address_space:  global
        .offset:         32
        .size:           8
        .value_kind:     global_buffer
      - .offset:         40
        .size:           8
        .value_kind:     by_value
      - .address_space:  global
        .offset:         48
        .size:           8
        .value_kind:     global_buffer
      - .address_space:  global
        .offset:         56
        .size:           8
        .value_kind:     global_buffer
      - .address_space:  global
        .offset:         64
        .size:           8
        .value_kind:     global_buffer
      - .address_space:  global
        .offset:         72
        .size:           8
        .value_kind:     global_buffer
      - .offset:         80
        .size:           4
        .value_kind:     by_value
      - .address_space:  global
        .offset:         88
        .size:           8
        .value_kind:     global_buffer
      - .address_space:  global
        .offset:         96
        .size:           8
        .value_kind:     global_buffer
    .group_segment_fixed_size: 32400
    .kernarg_segment_align: 8
    .kernarg_segment_size: 104
    .language:       OpenCL C
    .language_version:
      - 2
      - 0
    .max_flat_workgroup_size: 135
    .name:           bluestein_single_back_len2025_dim1_dp_op_CI_CI
    .private_segment_fixed_size: 544
    .sgpr_count:     32
    .sgpr_spill_count: 0
    .symbol:         bluestein_single_back_len2025_dim1_dp_op_CI_CI.kd
    .uniform_work_group_size: 1
    .uses_dynamic_stack: false
    .vgpr_count:     256
    .vgpr_spill_count: 135
    .wavefront_size: 64
amdhsa.target:   amdgcn-amd-amdhsa--gfx906
amdhsa.version:
  - 1
  - 2
...

	.end_amdgpu_metadata
